;; amdgpu-corpus repo=ROCm/rocFFT kind=compiled arch=gfx1201 opt=O3
	.text
	.amdgcn_target "amdgcn-amd-amdhsa--gfx1201"
	.amdhsa_code_object_version 6
	.protected	bluestein_single_fwd_len1560_dim1_sp_op_CI_CI ; -- Begin function bluestein_single_fwd_len1560_dim1_sp_op_CI_CI
	.globl	bluestein_single_fwd_len1560_dim1_sp_op_CI_CI
	.p2align	8
	.type	bluestein_single_fwd_len1560_dim1_sp_op_CI_CI,@function
bluestein_single_fwd_len1560_dim1_sp_op_CI_CI: ; @bluestein_single_fwd_len1560_dim1_sp_op_CI_CI
; %bb.0:
	s_load_b128 s[8:11], s[0:1], 0x28
	v_mul_u32_u24_e32 v1, 0x1a5, v0
	s_mov_b32 s2, exec_lo
	v_mov_b32_e32 v57, 0
	s_delay_alu instid0(VALU_DEP_2) | instskip(NEXT) | instid1(VALU_DEP_1)
	v_lshrrev_b32_e32 v1, 16, v1
	v_add_nc_u32_e32 v56, ttmp9, v1
	s_wait_kmcnt 0x0
	s_delay_alu instid0(VALU_DEP_1)
	v_cmpx_gt_u64_e64 s[8:9], v[56:57]
	s_cbranch_execz .LBB0_23
; %bb.1:
	s_clause 0x1
	s_load_b64 s[8:9], s[0:1], 0x0
	s_load_b64 s[12:13], s[0:1], 0x38
	v_mul_lo_u16 v1, 0x9c, v1
	s_delay_alu instid0(VALU_DEP_1) | instskip(NEXT) | instid1(VALU_DEP_1)
	v_sub_nc_u16 v0, v0, v1
	v_and_b32_e32 v86, 0xffff, v0
	v_cmp_gt_u16_e32 vcc_lo, 0x78, v0
	s_delay_alu instid0(VALU_DEP_2)
	v_lshlrev_b32_e32 v85, 3, v86
	s_and_saveexec_b32 s3, vcc_lo
	s_cbranch_execz .LBB0_3
; %bb.2:
	s_load_b64 s[4:5], s[0:1], 0x18
	s_delay_alu instid0(VALU_DEP_1)
	v_add_nc_u32_e32 v54, 0x400, v85
	v_add_nc_u32_e32 v58, 0x1c00, v85
	s_wait_kmcnt 0x0
	s_load_b128 s[4:7], s[4:5], 0x0
	s_wait_kmcnt 0x0
	v_mad_co_u64_u32 v[0:1], null, s6, v56, 0
	v_mad_co_u64_u32 v[2:3], null, s4, v86, 0
	s_delay_alu instid0(VALU_DEP_1) | instskip(NEXT) | instid1(VALU_DEP_1)
	v_mad_co_u64_u32 v[4:5], null, s7, v56, v[1:2]
	v_mad_co_u64_u32 v[5:6], null, s5, v86, v[3:4]
	v_mov_b32_e32 v1, v4
	s_mul_u64 s[4:5], s[4:5], 0x3c0
	s_delay_alu instid0(VALU_DEP_1) | instskip(NEXT) | instid1(VALU_DEP_3)
	v_lshlrev_b64_e32 v[0:1], 3, v[0:1]
	v_mov_b32_e32 v3, v5
	s_delay_alu instid0(VALU_DEP_2) | instskip(NEXT) | instid1(VALU_DEP_2)
	v_add_co_u32 v10, s2, s10, v0
	v_lshlrev_b64_e32 v[2:3], 3, v[2:3]
	s_delay_alu instid0(VALU_DEP_4)
	v_add_co_ci_u32_e64 v11, s2, s11, v1, s2
	s_clause 0xa
	global_load_b64 v[0:1], v85, s[8:9]
	global_load_b64 v[4:5], v85, s[8:9] offset:960
	global_load_b64 v[6:7], v85, s[8:9] offset:1920
	;; [unrolled: 1-line block ×10, first 2 shown]
	v_add_co_u32 v2, s2, v10, v2
	s_wait_alu 0xf1ff
	v_add_co_ci_u32_e64 v3, s2, v11, v3, s2
	s_wait_alu 0xfffe
	s_delay_alu instid0(VALU_DEP_2) | instskip(SKIP_1) | instid1(VALU_DEP_2)
	v_add_co_u32 v10, s2, v2, s4
	s_wait_alu 0xf1ff
	v_add_co_ci_u32_e64 v11, s2, s5, v3, s2
	global_load_b64 v[2:3], v[2:3], off
	v_add_co_u32 v20, s2, v10, s4
	s_wait_alu 0xf1ff
	v_add_co_ci_u32_e64 v21, s2, s5, v11, s2
	s_delay_alu instid0(VALU_DEP_2) | instskip(SKIP_1) | instid1(VALU_DEP_2)
	v_add_co_u32 v28, s2, v20, s4
	s_wait_alu 0xf1ff
	v_add_co_ci_u32_e64 v29, s2, s5, v21, s2
	s_delay_alu instid0(VALU_DEP_2) | instskip(SKIP_1) | instid1(VALU_DEP_2)
	v_add_co_u32 v30, s2, v28, s4
	s_wait_alu 0xf1ff
	v_add_co_ci_u32_e64 v31, s2, s5, v29, s2
	s_clause 0x2
	global_load_b64 v[10:11], v[10:11], off
	global_load_b64 v[20:21], v[20:21], off
	;; [unrolled: 1-line block ×3, first 2 shown]
	v_add_co_u32 v32, s2, v30, s4
	s_wait_alu 0xf1ff
	v_add_co_ci_u32_e64 v33, s2, s5, v31, s2
	global_load_b64 v[30:31], v[30:31], off
	v_add_co_u32 v34, s2, v32, s4
	s_wait_alu 0xf1ff
	v_add_co_ci_u32_e64 v35, s2, s5, v33, s2
	global_load_b64 v[32:33], v[32:33], off
	;; [unrolled: 4-line block ×7, first 2 shown]
	v_add_co_u32 v46, s2, v44, s4
	s_wait_alu 0xf1ff
	v_add_co_ci_u32_e64 v47, s2, s5, v45, s2
	global_load_b64 v[48:49], v85, s[8:9] offset:10560
	global_load_b64 v[44:45], v[44:45], off
	global_load_b64 v[50:51], v85, s[8:9] offset:11520
	global_load_b64 v[46:47], v[46:47], off
	v_add_nc_u32_e32 v59, 0x2400, v85
	v_add_nc_u32_e32 v57, 0x1400, v85
	s_wait_loadcnt 0xe
	v_mul_f32_e32 v52, v3, v1
	v_mul_f32_e32 v53, v2, v1
	s_delay_alu instid0(VALU_DEP_1)
	v_fma_f32 v53, v3, v0, -v53
	s_wait_loadcnt 0xd
	v_mul_f32_e32 v1, v11, v5
	s_wait_loadcnt 0xc
	v_mul_f32_e32 v3, v21, v7
	v_mul_f32_e32 v7, v20, v7
	s_delay_alu instid0(VALU_DEP_3)
	v_fmac_f32_e32 v1, v10, v4
	v_dual_fmac_f32 v52, v2, v0 :: v_dual_add_nc_u32 v55, 0xc00, v85
	v_mul_f32_e32 v0, v10, v5
	s_wait_loadcnt 0xb
	v_mul_f32_e32 v5, v29, v9
	v_mul_f32_e32 v9, v28, v9
	v_fmac_f32_e32 v3, v20, v6
	v_fma_f32 v2, v11, v4, -v0
	s_wait_loadcnt 0xa
	v_dual_fmac_f32 v5, v28, v8 :: v_dual_mul_f32 v0, v31, v13
	v_fma_f32 v4, v21, v6, -v7
	v_fma_f32 v6, v29, v8, -v9
	ds_store_2addr_b64 v85, v[52:53], v[1:2] offset1:120
	s_wait_loadcnt 0x9
	v_mul_f32_e32 v2, v33, v15
	v_fmac_f32_e32 v0, v30, v12
	s_delay_alu instid0(VALU_DEP_2)
	v_fmac_f32_e32 v2, v32, v14
	s_wait_loadcnt 0x6
	v_mul_f32_e32 v8, v39, v23
	s_wait_loadcnt 0x5
	v_mul_f32_e32 v10, v41, v25
	ds_store_2addr_b64 v54, v[3:4], v[5:6] offset0:112 offset1:232
	v_dual_mul_f32 v6, v37, v19 :: v_dual_mul_f32 v7, v30, v13
	v_dual_mul_f32 v3, v32, v15 :: v_dual_fmac_f32 v8, v38, v22
	v_mul_f32_e32 v4, v35, v17
	s_delay_alu instid0(VALU_DEP_3) | instskip(NEXT) | instid1(VALU_DEP_4)
	v_dual_mul_f32 v5, v34, v17 :: v_dual_fmac_f32 v6, v36, v18
	v_fma_f32 v1, v31, v12, -v7
	s_wait_loadcnt 0x4
	v_mul_f32_e32 v12, v43, v27
	v_mul_f32_e32 v7, v36, v19
	v_dual_mul_f32 v9, v38, v23 :: v_dual_fmac_f32 v10, v40, v24
	v_mul_f32_e32 v11, v40, v25
	v_fma_f32 v3, v33, v14, -v3
	v_fmac_f32_e32 v4, v34, v16
	v_fma_f32 v5, v35, v16, -v5
	s_wait_loadcnt 0x0
	v_mul_f32_e32 v16, v47, v51
	v_dual_mul_f32 v13, v42, v27 :: v_dual_mul_f32 v14, v45, v49
	v_mul_f32_e32 v15, v44, v49
	v_mul_f32_e32 v17, v46, v51
	v_fmac_f32_e32 v12, v42, v26
	v_fma_f32 v7, v37, v18, -v7
	v_fmac_f32_e32 v14, v44, v48
	v_fma_f32 v9, v39, v22, -v9
	v_fma_f32 v11, v41, v24, -v11
	v_fma_f32 v13, v43, v26, -v13
	v_fmac_f32_e32 v16, v46, v50
	v_fma_f32 v15, v45, v48, -v15
	v_fma_f32 v17, v47, v50, -v17
	ds_store_2addr_b64 v55, v[0:1], v[2:3] offset0:96 offset1:216
	ds_store_2addr_b64 v57, v[4:5], v[6:7] offset0:80 offset1:200
	;; [unrolled: 1-line block ×4, first 2 shown]
	ds_store_b64 v85, v[16:17] offset:11520
.LBB0_3:
	s_or_b32 exec_lo, exec_lo, s3
	s_clause 0x1
	s_load_b64 s[4:5], s[0:1], 0x20
	s_load_b64 s[2:3], s[0:1], 0x8
	v_mov_b32_e32 v0, 0
	v_mov_b32_e32 v1, 0
                                        ; kill: def $vgpr2 killed $sgpr0 killed $exec
	global_wb scope:SCOPE_SE
	s_wait_dscnt 0x0
	s_wait_kmcnt 0x0
	s_barrier_signal -1
	s_barrier_wait -1
	global_inv scope:SCOPE_SE
                                        ; implicit-def: $vgpr14
                                        ; implicit-def: $vgpr10
                                        ; implicit-def: $vgpr4
                                        ; implicit-def: $vgpr24
                                        ; implicit-def: $vgpr18
                                        ; implicit-def: $vgpr22
	s_and_saveexec_b32 s0, vcc_lo
	s_cbranch_execz .LBB0_5
; %bb.4:
	v_add_nc_u32_e32 v4, 0x400, v85
	v_add_nc_u32_e32 v5, 0xc00, v85
	;; [unrolled: 1-line block ×5, first 2 shown]
	ds_load_2addr_b64 v[0:3], v85 offset1:120
	ds_load_2addr_b64 v[20:23], v4 offset0:112 offset1:232
	ds_load_2addr_b64 v[16:19], v5 offset0:96 offset1:216
	;; [unrolled: 1-line block ×5, first 2 shown]
	ds_load_b64 v[24:25], v85 offset:11520
.LBB0_5:
	s_wait_alu 0xfffe
	s_or_b32 exec_lo, exec_lo, s0
	s_wait_dscnt 0x0
	v_dual_sub_f32 v70, v3, v25 :: v_dual_sub_f32 v75, v2, v24
	v_dual_add_f32 v26, v24, v2 :: v_dual_add_f32 v27, v25, v3
	global_wb scope:SCOPE_SE
	v_dual_mul_f32 v35, 0xbeedf032, v70 :: v_dual_mul_f32 v42, 0xbeedf032, v75
	v_dual_mul_f32 v47, 0xbf52af12, v70 :: v_dual_mul_f32 v50, 0xbf52af12, v75
	s_barrier_signal -1
	s_barrier_wait -1
	s_delay_alu instid0(VALU_DEP_2)
	v_fma_f32 v29, 0x3f62ad3f, v27, -v42
	v_mul_f32_e32 v61, 0xbf7e222b, v70
	v_fma_f32 v31, 0x3f116cb1, v27, -v50
	v_fmamk_f32 v28, v26, 0x3f62ad3f, v35
	global_inv scope:SCOPE_SE
	v_add_f32_e32 v34, v29, v1
	v_dual_fmamk_f32 v32, v26, 0x3df6dbef, v61 :: v_dual_add_f32 v29, v7, v21
	v_dual_add_f32 v31, v31, v1 :: v_dual_fmamk_f32 v30, v26, 0x3f116cb1, v47
	v_add_f32_e32 v33, v28, v0
	v_sub_f32_e32 v78, v20, v6
	v_add_f32_e32 v28, v6, v20
	v_dual_sub_f32 v74, v21, v7 :: v_dual_sub_f32 v79, v23, v5
	s_delay_alu instid0(VALU_DEP_3) | instskip(SKIP_1) | instid1(VALU_DEP_3)
	v_dual_sub_f32 v81, v22, v4 :: v_dual_mul_f32 v44, 0xbf52af12, v78
	v_mul_f32_e32 v60, 0xbf6f5d39, v78
	v_mul_f32_e32 v38, 0xbf52af12, v74
	s_delay_alu instid0(VALU_DEP_4) | instskip(NEXT) | instid1(VALU_DEP_4)
	v_mul_f32_e32 v43, 0xbf7e222b, v79
	v_mul_f32_e32 v76, 0x3f6f5d39, v81
	v_fma_f32 v39, 0x3f116cb1, v29, -v44
	v_fma_f32 v41, 0xbeb58ec6, v29, -v60
	v_dual_fmamk_f32 v37, v28, 0x3f116cb1, v38 :: v_dual_add_f32 v30, v30, v0
	v_mul_f32_e32 v51, 0xbf6f5d39, v74
	v_mul_f32_e32 v66, 0xbf7e222b, v75
	v_dual_add_f32 v32, v32, v0 :: v_dual_mul_f32 v67, 0xbe750f2a, v74
	s_delay_alu instid0(VALU_DEP_3) | instskip(SKIP_2) | instid1(VALU_DEP_3)
	v_dual_add_f32 v33, v37, v33 :: v_dual_fmamk_f32 v40, v28, 0xbeb58ec6, v51
	v_dual_add_f32 v34, v39, v34 :: v_dual_add_f32 v39, v41, v31
	v_dual_add_f32 v31, v5, v23 :: v_dual_mul_f32 v46, 0xbf7e222b, v81
	v_add_f32_e32 v37, v40, v30
	v_fma_f32 v36, 0x3df6dbef, v27, -v66
	v_mul_f32_e32 v55, 0xbe750f2a, v79
	v_mul_f32_e32 v71, 0xbe750f2a, v78
	v_fma_f32 v45, 0x3df6dbef, v31, -v46
	v_fmamk_f32 v30, v28, 0xbf788fa5, v67
	v_add_f32_e32 v36, v36, v1
	v_mul_f32_e32 v65, 0xbe750f2a, v81
	v_fma_f32 v40, 0xbf788fa5, v29, -v71
	v_mul_f32_e32 v72, 0x3f6f5d39, v79
	v_add_f32_e32 v32, v30, v32
	v_dual_add_f32 v30, v4, v22 :: v_dual_sub_f32 v83, v17, v11
	s_delay_alu instid0(VALU_DEP_4) | instskip(SKIP_1) | instid1(VALU_DEP_3)
	v_add_f32_e32 v40, v40, v36
	v_fma_f32 v36, 0xbf788fa5, v31, -v65
	v_dual_sub_f32 v84, v16, v10 :: v_dual_fmamk_f32 v49, v30, 0xbeb58ec6, v72
	v_fmamk_f32 v48, v30, 0xbf788fa5, v55
	v_fmamk_f32 v41, v30, 0x3df6dbef, v43
	s_delay_alu instid0(VALU_DEP_3) | instskip(SKIP_1) | instid1(VALU_DEP_4)
	v_dual_mul_f32 v62, 0x3f29c268, v83 :: v_dual_mul_f32 v69, 0x3f29c268, v84
	v_add_f32_e32 v39, v36, v39
	v_add_f32_e32 v37, v48, v37
	s_delay_alu instid0(VALU_DEP_4) | instskip(SKIP_4) | instid1(VALU_DEP_4)
	v_add_f32_e32 v33, v41, v33
	v_dual_add_f32 v41, v45, v34 :: v_dual_add_f32 v34, v10, v16
	v_dual_mul_f32 v45, 0xbf6f5d39, v83 :: v_dual_add_f32 v36, v11, v17
	v_fma_f32 v52, 0xbeb58ec6, v31, -v76
	v_mul_f32_e32 v82, 0x3eedf032, v84
	v_fmamk_f32 v54, v34, 0xbf3f9e67, v62
	s_delay_alu instid0(VALU_DEP_4) | instskip(SKIP_3) | instid1(VALU_DEP_4)
	v_dual_add_f32 v32, v49, v32 :: v_dual_fmamk_f32 v49, v34, 0xbeb58ec6, v45
	v_mul_f32_e32 v48, 0xbf6f5d39, v84
	v_dual_sub_f32 v93, v18, v8 :: v_dual_sub_f32 v94, v13, v15
	v_sub_f32_e32 v95, v12, v14
	v_add_f32_e32 v33, v49, v33
	s_delay_alu instid0(VALU_DEP_4) | instskip(SKIP_3) | instid1(VALU_DEP_4)
	v_fma_f32 v53, 0xbeb58ec6, v36, -v48
	v_mul_f32_e32 v80, 0x3eedf032, v83
	v_sub_f32_e32 v90, v19, v9
	v_dual_add_f32 v40, v52, v40 :: v_dual_mul_f32 v73, 0x3f7e222b, v93
	v_add_f32_e32 v52, v53, v41
	v_fma_f32 v41, 0xbf3f9e67, v36, -v69
	v_mul_f32_e32 v77, 0x3eedf032, v95
	v_mul_f32_e32 v92, 0xbf29c268, v95
	s_delay_alu instid0(VALU_DEP_3)
	v_add_f32_e32 v57, v41, v39
	v_add_f32_e32 v53, v54, v37
	;; [unrolled: 1-line block ×3, first 2 shown]
	v_fmamk_f32 v41, v34, 0x3f62ad3f, v80
	v_mul_f32_e32 v49, 0xbf29c268, v90
	v_add_f32_e32 v39, v9, v19
	v_fma_f32 v54, 0x3f62ad3f, v36, -v82
	s_delay_alu instid0(VALU_DEP_4) | instskip(NEXT) | instid1(VALU_DEP_4)
	v_dual_mul_f32 v59, 0xbf29c268, v93 :: v_dual_add_f32 v32, v41, v32
	v_fmamk_f32 v58, v37, 0xbf3f9e67, v49
	s_delay_alu instid0(VALU_DEP_3) | instskip(SKIP_2) | instid1(VALU_DEP_4)
	v_dual_mul_f32 v63, 0x3f7e222b, v90 :: v_dual_add_f32 v88, v54, v40
	v_add_f32_e32 v41, v15, v13
	v_mul_f32_e32 v87, 0xbf52af12, v90
	v_add_f32_e32 v33, v58, v33
	v_fma_f32 v58, 0xbf3f9e67, v39, -v59
	v_fmamk_f32 v68, v37, 0x3df6dbef, v63
	v_dual_add_f32 v40, v14, v12 :: v_dual_mul_f32 v91, 0xbf52af12, v93
	v_fma_f32 v99, 0x3f62ad3f, v41, -v77
	v_fma_f32 v101, 0xbf3f9e67, v41, -v92
	s_delay_alu instid0(VALU_DEP_4) | instskip(SKIP_4) | instid1(VALU_DEP_4)
	v_dual_add_f32 v53, v68, v53 :: v_dual_add_f32 v52, v58, v52
	v_fma_f32 v58, 0x3df6dbef, v39, -v73
	v_mul_f32_e32 v54, 0xbe750f2a, v94
	v_mul_f32_e32 v68, 0x3eedf032, v94
	v_fma_f32 v98, 0x3f116cb1, v39, -v91
	v_add_f32_e32 v97, v58, v57
	s_delay_alu instid0(VALU_DEP_4) | instskip(SKIP_2) | instid1(VALU_DEP_3)
	v_fmamk_f32 v89, v40, 0xbf788fa5, v54
	v_mul_f32_e32 v64, 0xbe750f2a, v95
	v_fmamk_f32 v58, v37, 0x3f116cb1, v87
	v_dual_add_f32 v88, v98, v88 :: v_dual_add_f32 v57, v89, v33
	v_mul_f32_e32 v89, 0xbf29c268, v94
	s_delay_alu instid0(VALU_DEP_4) | instskip(NEXT) | instid1(VALU_DEP_4)
	v_fma_f32 v96, 0xbf788fa5, v41, -v64
	v_add_f32_e32 v100, v58, v32
	s_delay_alu instid0(VALU_DEP_3) | instskip(SKIP_1) | instid1(VALU_DEP_4)
	v_fmamk_f32 v98, v40, 0xbf3f9e67, v89
	v_fmamk_f32 v33, v40, 0x3f62ad3f, v68
	v_add_f32_e32 v58, v96, v52
	s_delay_alu instid0(VALU_DEP_3) | instskip(NEXT) | instid1(VALU_DEP_3)
	v_add_f32_e32 v52, v98, v100
	v_add_f32_e32 v32, v33, v53
	;; [unrolled: 1-line block ×4, first 2 shown]
	v_mul_lo_u16 v88, v86, 13
	s_and_saveexec_b32 s0, vcc_lo
	s_cbranch_execz .LBB0_7
; %bb.6:
	v_mul_f32_e32 v104, 0xbf29c268, v70
	v_mul_f32_e32 v98, 0xbf3f9e67, v27
	;; [unrolled: 1-line block ×5, first 2 shown]
	v_fmamk_f32 v109, v26, 0xbf3f9e67, v104
	v_mul_f32_e32 v100, 0x3f116cb1, v31
	v_fmamk_f32 v111, v28, 0x3df6dbef, v105
	v_fmamk_f32 v114, v34, 0xbf788fa5, v107
	s_delay_alu instid0(VALU_DEP_4) | instskip(SKIP_3) | instid1(VALU_DEP_4)
	v_dual_mul_f32 v106, 0xbf52af12, v79 :: v_dual_add_f32 v109, v109, v0
	v_mul_f32_e32 v102, 0x3f62ad3f, v39
	v_fmamk_f32 v119, v36, 0x3f116cb1, v116
	v_mul_f32_e32 v118, 0xbe750f2a, v70
	v_fmamk_f32 v113, v30, 0x3f116cb1, v106
	v_add_f32_e32 v109, v111, v109
	v_fmamk_f32 v96, v75, 0x3f29c268, v98
	v_fmamk_f32 v108, v81, 0x3f52af12, v100
	v_fma_f32 v120, 0xbf788fa5, v26, -v118
	v_fmamk_f32 v112, v93, 0xbeedf032, v102
	v_add_f32_e32 v109, v113, v109
	v_dual_mul_f32 v101, 0xbf788fa5, v36 :: v_dual_add_f32 v96, v96, v1
	v_mul_f32_e32 v99, 0x3df6dbef, v29
	v_mul_f32_e32 v111, 0x3eedf032, v78
	v_dual_mul_f32 v113, 0xbf29c268, v81 :: v_dual_fmac_f32 v98, 0xbf29c268, v75
	v_dual_mul_f32 v115, 0xbf6f5d39, v94 :: v_dual_mul_f32 v122, 0xbf6f5d39, v93
	s_delay_alu instid0(VALU_DEP_4) | instskip(SKIP_3) | instid1(VALU_DEP_4)
	v_fmamk_f32 v97, v78, 0xbf7e222b, v99
	v_fmac_f32_e32 v102, 0x3eedf032, v93
	v_add_f32_e32 v2, v2, v0
	v_add_f32_e32 v98, v98, v1
	v_dual_mul_f32 v93, 0x3e750f2a, v93 :: v_dual_add_f32 v96, v97, v96
	v_mul_f32_e32 v103, 0xbeb58ec6, v41
	v_fmamk_f32 v97, v84, 0xbe750f2a, v101
	v_fmac_f32_e32 v99, 0x3f7e222b, v78
	v_fmac_f32_e32 v101, 0x3e750f2a, v84
	v_add_f32_e32 v96, v108, v96
	v_mul_f32_e32 v108, 0xbe750f2a, v75
	v_mul_f32_e32 v78, 0x3f29c268, v78
	v_add_f32_e32 v98, v99, v98
	v_mul_f32_e32 v84, 0xbf7e222b, v84
	s_delay_alu instid0(VALU_DEP_4) | instskip(SKIP_2) | instid1(VALU_DEP_3)
	v_dual_add_f32 v96, v97, v96 :: v_dual_fmamk_f32 v97, v27, 0xbf788fa5, v108
	v_fma_f32 v105, 0x3df6dbef, v28, -v105
	v_add_f32_e32 v2, v20, v2
	v_dual_add_f32 v96, v112, v96 :: v_dual_add_f32 v97, v97, v1
	v_fmamk_f32 v112, v29, 0x3f62ad3f, v111
	v_fma_f32 v104, 0xbf3f9e67, v26, -v104
	v_fmamk_f32 v117, v95, 0x3f6f5d39, v103
	v_fmac_f32_e32 v103, 0xbf6f5d39, v95
	v_fmac_f32_e32 v100, 0xbf52af12, v81
	v_dual_add_f32 v97, v112, v97 :: v_dual_fmamk_f32 v112, v31, 0xbf3f9e67, v113
	v_dual_add_f32 v104, v104, v0 :: v_dual_mul_f32 v121, 0x3eedf032, v74
	s_delay_alu instid0(VALU_DEP_3) | instskip(NEXT) | instid1(VALU_DEP_3)
	v_dual_add_f32 v98, v100, v98 :: v_dual_mul_f32 v81, 0x3eedf032, v81
	v_add_f32_e32 v112, v112, v97
	s_delay_alu instid0(VALU_DEP_3) | instskip(SKIP_2) | instid1(VALU_DEP_4)
	v_add_f32_e32 v100, v105, v104
	v_add_f32_e32 v97, v117, v96
	v_mul_f32_e32 v117, 0xbf29c268, v79
	v_dual_add_f32 v109, v114, v109 :: v_dual_add_f32 v112, v119, v112
	v_dual_fmamk_f32 v119, v39, 0xbeb58ec6, v122 :: v_dual_add_f32 v98, v101, v98
	v_mul_f32_e32 v110, 0x3eedf032, v90
	v_mul_f32_e32 v101, 0x3f7e222b, v95
	v_fma_f32 v104, 0x3f116cb1, v30, -v106
	v_mul_f32_e32 v106, 0x3f7e222b, v94
	v_dual_add_f32 v112, v119, v112 :: v_dual_mul_f32 v119, 0x3f52af12, v83
	v_add_f32_e32 v102, v102, v98
	v_fmamk_f32 v98, v41, 0x3df6dbef, v101
	v_add_f32_e32 v100, v104, v100
	v_fma_f32 v104, 0xbf788fa5, v34, -v107
	v_fma_f32 v99, 0x3f116cb1, v34, -v119
	v_fmamk_f32 v114, v37, 0x3f62ad3f, v110
	v_mul_f32_e32 v107, 0xbf6f5d39, v75
	s_delay_alu instid0(VALU_DEP_4) | instskip(SKIP_1) | instid1(VALU_DEP_4)
	v_dual_mul_f32 v79, 0x3eedf032, v79 :: v_dual_add_f32 v100, v104, v100
	v_fma_f32 v104, 0x3df6dbef, v40, -v106
	v_dual_add_f32 v109, v114, v109 :: v_dual_fmamk_f32 v114, v40, 0xbeb58ec6, v115
	v_mul_f32_e32 v83, 0xbf7e222b, v83
	v_mul_f32_e32 v95, 0x3f52af12, v95
	v_fmac_f32_e32 v106, 0x3df6dbef, v40
	s_delay_alu instid0(VALU_DEP_4) | instskip(SKIP_3) | instid1(VALU_DEP_2)
	v_dual_fmac_f32 v119, 0x3f116cb1, v34 :: v_dual_add_f32 v96, v114, v109
	v_add_f32_e32 v109, v120, v0
	v_fma_f32 v114, 0x3f62ad3f, v28, -v121
	v_fmac_f32_e32 v121, 0x3f62ad3f, v28
	v_add_f32_e32 v109, v114, v109
	v_fma_f32 v114, 0xbf3f9e67, v30, -v117
	v_fmac_f32_e32 v117, 0xbf3f9e67, v30
	s_delay_alu instid0(VALU_DEP_2) | instskip(NEXT) | instid1(VALU_DEP_1)
	v_dual_add_f32 v109, v114, v109 :: v_dual_mul_f32 v114, 0xbf6f5d39, v90
	v_add_f32_e32 v99, v99, v109
	s_delay_alu instid0(VALU_DEP_2) | instskip(SKIP_2) | instid1(VALU_DEP_3)
	v_fma_f32 v105, 0xbeb58ec6, v37, -v114
	v_fma_f32 v109, 0x3f62ad3f, v37, -v110
	v_fmamk_f32 v110, v36, 0x3df6dbef, v84
	v_dual_fmac_f32 v114, 0xbeb58ec6, v37 :: v_dual_add_f32 v105, v105, v99
	s_delay_alu instid0(VALU_DEP_1)
	v_dual_add_f32 v99, v98, v112 :: v_dual_add_f32 v98, v104, v105
	v_fmamk_f32 v104, v27, 0xbeb58ec6, v107
	v_add_f32_e32 v75, v103, v102
	v_mul_f32_e32 v102, 0xbf6f5d39, v70
	v_fmamk_f32 v103, v29, 0xbf3f9e67, v78
	v_add_f32_e32 v100, v109, v100
	v_dual_add_f32 v70, v104, v1 :: v_dual_mul_f32 v109, 0x3f29c268, v74
	v_fmamk_f32 v74, v31, 0x3f62ad3f, v81
	v_fma_f32 v104, 0xbeb58ec6, v40, -v115
	s_delay_alu instid0(VALU_DEP_3) | instskip(NEXT) | instid1(VALU_DEP_1)
	v_add_f32_e32 v70, v103, v70
	v_add_f32_e32 v70, v74, v70
	s_delay_alu instid0(VALU_DEP_3)
	v_add_f32_e32 v74, v104, v100
	v_fmamk_f32 v100, v39, 0xbf788fa5, v93
	v_fma_f32 v104, 0x3df6dbef, v34, -v83
	v_fmac_f32_e32 v83, 0x3df6dbef, v34
	v_add_f32_e32 v70, v110, v70
	v_mul_f32_e32 v110, 0x3df6dbef, v26
	s_delay_alu instid0(VALU_DEP_1) | instskip(SKIP_1) | instid1(VALU_DEP_2)
	v_sub_f32_e32 v61, v110, v61
	v_fma_f32 v105, 0xbeb58ec6, v26, -v102
	v_add_f32_e32 v61, v61, v0
	s_delay_alu instid0(VALU_DEP_2) | instskip(SKIP_2) | instid1(VALU_DEP_2)
	v_add_f32_e32 v103, v105, v0
	v_fma_f32 v105, 0xbf3f9e67, v28, -v109
	v_fmac_f32_e32 v109, 0xbf3f9e67, v28
	v_add_f32_e32 v103, v105, v103
	v_fma_f32 v105, 0x3f62ad3f, v30, -v79
	v_fmac_f32_e32 v79, 0x3f62ad3f, v30
	s_delay_alu instid0(VALU_DEP_2) | instskip(SKIP_1) | instid1(VALU_DEP_1)
	v_add_f32_e32 v103, v105, v103
	v_mul_f32_e32 v105, 0x3df6dbef, v27
	v_dual_add_f32 v66, v66, v105 :: v_dual_fmamk_f32 v105, v41, 0x3f116cb1, v95
	v_add_f32_e32 v70, v100, v70
	s_delay_alu instid0(VALU_DEP_4) | instskip(SKIP_1) | instid1(VALU_DEP_1)
	v_add_f32_e32 v100, v104, v103
	v_mul_f32_e32 v104, 0xbf788fa5, v29
	v_dual_add_f32 v104, v71, v104 :: v_dual_add_f32 v71, v105, v70
	v_dual_mul_f32 v105, 0x3f62ad3f, v27 :: v_dual_add_f32 v66, v66, v1
	s_delay_alu instid0(VALU_DEP_1) | instskip(SKIP_1) | instid1(VALU_DEP_1)
	v_add_f32_e32 v66, v104, v66
	v_mul_f32_e32 v104, 0xbf788fa5, v28
	v_dual_sub_f32 v67, v104, v67 :: v_dual_mul_f32 v90, 0x3e750f2a, v90
	s_delay_alu instid0(VALU_DEP_1) | instskip(NEXT) | instid1(VALU_DEP_2)
	v_add_f32_e32 v61, v67, v61
	v_fma_f32 v103, 0xbf788fa5, v37, -v90
	v_mul_f32_e32 v67, 0x3f116cb1, v39
	v_mul_f32_e32 v94, 0x3f52af12, v94
	v_fmac_f32_e32 v90, 0xbf788fa5, v37
	s_delay_alu instid0(VALU_DEP_4) | instskip(NEXT) | instid1(VALU_DEP_4)
	v_add_f32_e32 v100, v103, v100
	v_add_f32_e32 v67, v91, v67
	s_delay_alu instid0(VALU_DEP_4) | instskip(SKIP_1) | instid1(VALU_DEP_2)
	v_fma_f32 v103, 0x3f116cb1, v40, -v94
	v_dual_mul_f32 v91, 0x3f116cb1, v29 :: v_dual_fmac_f32 v94, 0x3f116cb1, v40
	v_dual_add_f32 v70, v103, v100 :: v_dual_mul_f32 v103, 0xbeb58ec6, v31
	s_delay_alu instid0(VALU_DEP_1) | instskip(NEXT) | instid1(VALU_DEP_1)
	v_dual_add_f32 v76, v76, v103 :: v_dual_mul_f32 v103, 0x3f62ad3f, v36
	v_add_f32_e32 v66, v76, v66
	v_mul_f32_e32 v76, 0xbeb58ec6, v30
	s_delay_alu instid0(VALU_DEP_1) | instskip(NEXT) | instid1(VALU_DEP_1)
	v_sub_f32_e32 v72, v76, v72
	v_add_f32_e32 v61, v72, v61
	v_mul_f32_e32 v72, 0xbf3f9e67, v41
	s_delay_alu instid0(VALU_DEP_1) | instskip(SKIP_1) | instid1(VALU_DEP_1)
	v_add_f32_e32 v72, v92, v72
	v_add_f32_e32 v82, v82, v103
	v_dual_mul_f32 v103, 0x3f116cb1, v27 :: v_dual_add_f32 v66, v82, v66
	s_delay_alu instid0(VALU_DEP_1) | instskip(NEXT) | instid1(VALU_DEP_2)
	v_add_f32_e32 v50, v50, v103
	v_dual_mul_f32 v103, 0x3df6dbef, v31 :: v_dual_add_f32 v66, v67, v66
	v_mul_f32_e32 v67, 0xbeb58ec6, v29
	s_delay_alu instid0(VALU_DEP_1) | instskip(SKIP_1) | instid1(VALU_DEP_1)
	v_dual_add_f32 v60, v60, v67 :: v_dual_mul_f32 v67, 0xbf788fa5, v30
	v_mul_f32_e32 v92, 0x3f116cb1, v37
	v_dual_sub_f32 v87, v92, v87 :: v_dual_mul_f32 v92, 0xbf3f9e67, v40
	s_delay_alu instid0(VALU_DEP_1) | instskip(NEXT) | instid1(VALU_DEP_1)
	v_dual_mul_f32 v104, 0x3f116cb1, v26 :: v_dual_sub_f32 v89, v92, v89
	v_dual_mul_f32 v76, 0x3f116cb1, v28 :: v_dual_sub_f32 v47, v104, v47
	s_delay_alu instid0(VALU_DEP_1) | instskip(NEXT) | instid1(VALU_DEP_1)
	v_dual_mul_f32 v82, 0x3f62ad3f, v34 :: v_dual_add_f32 v47, v47, v0
	v_sub_f32_e32 v80, v82, v80
	s_delay_alu instid0(VALU_DEP_1) | instskip(NEXT) | instid1(VALU_DEP_1)
	v_dual_mul_f32 v100, 0x3f62ad3f, v26 :: v_dual_add_f32 v61, v80, v61
	v_add_f32_e32 v87, v87, v61
	v_mul_f32_e32 v61, 0xbf788fa5, v31
	s_delay_alu instid0(VALU_DEP_1) | instskip(SKIP_1) | instid1(VALU_DEP_1)
	v_add_f32_e32 v65, v65, v61
	v_dual_add_f32 v61, v72, v66 :: v_dual_mul_f32 v66, 0xbf3f9e67, v36
	v_dual_add_f32 v66, v69, v66 :: v_dual_mul_f32 v69, 0x3df6dbef, v39
	s_delay_alu instid0(VALU_DEP_1) | instskip(NEXT) | instid1(VALU_DEP_1)
	v_dual_mul_f32 v82, 0xbeb58ec6, v28 :: v_dual_add_f32 v69, v73, v69
	v_sub_f32_e32 v51, v82, v51
	v_mul_f32_e32 v73, 0x3f62ad3f, v41
	s_delay_alu instid0(VALU_DEP_2) | instskip(SKIP_1) | instid1(VALU_DEP_3)
	v_dual_mul_f32 v80, 0x3df6dbef, v30 :: v_dual_add_f32 v47, v51, v47
	v_sub_f32_e32 v51, v67, v55
	v_add_f32_e32 v67, v77, v73
	v_mul_f32_e32 v55, 0x3f62ad3f, v40
	v_mul_f32_e32 v112, 0xbf3f9e67, v34
	s_delay_alu instid0(VALU_DEP_4) | instskip(NEXT) | instid1(VALU_DEP_2)
	v_dual_add_f32 v50, v50, v1 :: v_dual_add_f32 v47, v51, v47
	v_dual_sub_f32 v51, v112, v62 :: v_dual_add_f32 v62, v3, v1
	v_mul_f32_e32 v110, 0xbeb58ec6, v36
	s_delay_alu instid0(VALU_DEP_2) | instskip(NEXT) | instid1(VALU_DEP_3)
	v_dual_mul_f32 v92, 0xbeb58ec6, v34 :: v_dual_add_f32 v47, v51, v47
	v_add_f32_e32 v21, v21, v62
	v_add_f32_e32 v50, v60, v50
	v_dual_add_f32 v60, v89, v87 :: v_dual_mul_f32 v87, 0x3df6dbef, v37
	s_delay_alu instid0(VALU_DEP_3) | instskip(SKIP_1) | instid1(VALU_DEP_2)
	v_add_f32_e32 v21, v23, v21
	v_sub_f32_e32 v23, v55, v68
	v_add_f32_e32 v17, v17, v21
	v_add_f32_e32 v21, v22, v2
	v_dual_add_f32 v50, v65, v50 :: v_dual_mul_f32 v65, 0xbf3f9e67, v39
	s_delay_alu instid0(VALU_DEP_3) | instskip(NEXT) | instid1(VALU_DEP_3)
	v_add_f32_e32 v17, v19, v17
	v_add_f32_e32 v16, v16, v21
	s_delay_alu instid0(VALU_DEP_3) | instskip(NEXT) | instid1(VALU_DEP_3)
	v_dual_mul_f32 v82, 0xbf788fa5, v40 :: v_dual_add_f32 v21, v59, v65
	v_dual_add_f32 v13, v13, v17 :: v_dual_add_f32 v50, v66, v50
	s_delay_alu instid0(VALU_DEP_3) | instskip(SKIP_1) | instid1(VALU_DEP_3)
	v_add_f32_e32 v16, v18, v16
	v_dual_mul_f32 v66, 0xbf788fa5, v41 :: v_dual_sub_f32 v17, v76, v38
	v_dual_add_f32 v13, v15, v13 :: v_dual_add_f32 v50, v69, v50
	s_delay_alu instid0(VALU_DEP_3) | instskip(SKIP_2) | instid1(VALU_DEP_4)
	v_add_f32_e32 v15, v12, v16
	v_add_f32_e32 v44, v44, v91
	;; [unrolled: 1-line block ×6, first 2 shown]
	v_fma_f32 v14, 0xbf788fa5, v27, -v108
	v_sub_f32_e32 v50, v87, v63
	v_add_f32_e32 v9, v11, v9
	s_delay_alu instid0(VALU_DEP_4) | instskip(NEXT) | instid1(VALU_DEP_4)
	v_add_f32_e32 v8, v8, v13
	v_add_f32_e32 v11, v14, v1
	s_delay_alu instid0(VALU_DEP_4) | instskip(SKIP_1) | instid1(VALU_DEP_4)
	v_add_f32_e32 v20, v50, v47
	v_fma_f32 v13, 0x3f62ad3f, v29, -v111
	v_dual_add_f32 v5, v5, v9 :: v_dual_add_f32 v8, v10, v8
	v_fma_f32 v10, 0xbf3f9e67, v31, -v113
	s_delay_alu instid0(VALU_DEP_4) | instskip(SKIP_3) | instid1(VALU_DEP_2)
	v_add_f32_e32 v2, v23, v20
	v_sub_f32_e32 v20, v100, v35
	v_dual_add_f32 v9, v13, v11 :: v_dual_add_f32 v22, v48, v110
	v_dual_add_f32 v5, v7, v5 :: v_dual_add_f32 v4, v4, v8
	;; [unrolled: 1-line block ×3, first 2 shown]
	v_fma_f32 v8, 0x3f116cb1, v36, -v116
	s_delay_alu instid0(VALU_DEP_3) | instskip(SKIP_1) | instid1(VALU_DEP_4)
	v_add_f32_e32 v5, v25, v5
	v_fma_f32 v9, 0xbeb58ec6, v27, -v107
	v_dual_add_f32 v16, v17, v20 :: v_dual_sub_f32 v17, v80, v43
	v_add_f32_e32 v42, v42, v1
	v_add_f32_e32 v4, v6, v4
	v_add_f32_e32 v6, v8, v7
	v_fma_f32 v7, 0xbeb58ec6, v39, -v122
	s_delay_alu instid0(VALU_DEP_4) | instskip(SKIP_4) | instid1(VALU_DEP_4)
	v_dual_add_f32 v15, v17, v16 :: v_dual_add_f32 v42, v44, v42
	v_add_f32_e32 v44, v46, v103
	v_sub_f32_e32 v16, v92, v45
	v_dual_add_f32 v1, v9, v1 :: v_dual_fmac_f32 v118, 0xbf788fa5, v26
	v_add_f32_e32 v6, v7, v6
	v_add_f32_e32 v42, v44, v42
	v_mul_f32_e32 v72, 0xbf3f9e67, v37
	v_add_f32_e32 v14, v16, v15
	v_fma_f32 v9, 0x3df6dbef, v41, -v101
	v_add_f32_e32 v8, v118, v0
	v_add_f32_e32 v19, v22, v42
	v_sub_f32_e32 v15, v72, v49
	v_dual_sub_f32 v13, v82, v54 :: v_dual_and_b32 v10, 0xffff, v88
	s_delay_alu instid0(VALU_DEP_4) | instskip(NEXT) | instid1(VALU_DEP_4)
	v_add_f32_e32 v7, v121, v8
	v_dual_add_f32 v18, v21, v19 :: v_dual_add_f32 v19, v64, v66
	v_fma_f32 v8, 0xbf3f9e67, v29, -v78
	v_add_f32_e32 v11, v15, v14
	s_delay_alu instid0(VALU_DEP_4) | instskip(NEXT) | instid1(VALU_DEP_3)
	v_dual_add_f32 v7, v117, v7 :: v_dual_lshlrev_b32 v10, 3, v10
	v_dual_add_f32 v12, v19, v18 :: v_dual_add_f32 v1, v8, v1
	v_fma_f32 v8, 0x3f62ad3f, v31, -v81
	s_delay_alu instid0(VALU_DEP_4) | instskip(SKIP_2) | instid1(VALU_DEP_4)
	v_add_f32_e32 v11, v13, v11
	v_fma_f32 v13, 0x3f116cb1, v41, -v95
	v_add_f32_e32 v7, v119, v7
	v_add_f32_e32 v1, v8, v1
	v_fma_f32 v8, 0x3df6dbef, v36, -v84
	s_delay_alu instid0(VALU_DEP_3) | instskip(NEXT) | instid1(VALU_DEP_2)
	v_dual_add_f32 v4, v24, v4 :: v_dual_add_f32 v7, v114, v7
	v_add_f32_e32 v1, v8, v1
	v_fma_f32 v8, 0xbf788fa5, v39, -v93
	s_delay_alu instid0(VALU_DEP_1) | instskip(SKIP_1) | instid1(VALU_DEP_1)
	v_add_f32_e32 v8, v8, v1
	v_fmac_f32_e32 v102, 0xbeb58ec6, v26
	v_dual_add_f32 v1, v9, v6 :: v_dual_add_f32 v0, v102, v0
	s_delay_alu instid0(VALU_DEP_1) | instskip(NEXT) | instid1(VALU_DEP_1)
	v_add_f32_e32 v0, v109, v0
	v_add_f32_e32 v0, v79, v0
	s_delay_alu instid0(VALU_DEP_1) | instskip(NEXT) | instid1(VALU_DEP_1)
	v_add_f32_e32 v0, v83, v0
	v_add_f32_e32 v14, v90, v0
	v_dual_add_f32 v0, v106, v7 :: v_dual_add_f32 v7, v13, v8
	s_delay_alu instid0(VALU_DEP_2)
	v_add_f32_e32 v6, v94, v14
	ds_store_2addr_b64 v10, v[4:5], v[11:12] offset1:1
	ds_store_2addr_b64 v10, v[2:3], v[60:61] offset0:2 offset1:3
	ds_store_2addr_b64 v10, v[70:71], v[74:75] offset0:4 offset1:5
	;; [unrolled: 1-line block ×5, first 2 shown]
	ds_store_b64 v10, v[57:58] offset:96
.LBB0_7:
	s_wait_alu 0xfffe
	s_or_b32 exec_lo, exec_lo, s0
	v_add_co_u32 v18, s0, 0x9c, v86
	v_and_b32_e32 v0, 0xff, v86
	s_wait_alu 0xf1ff
	v_add_co_ci_u32_e64 v19, null, 0, 0, s0
	v_add_co_u32 v16, s0, 0x138, v86
	s_wait_alu 0xf1ff
	v_add_co_ci_u32_e64 v17, null, 0, 0, s0
	v_add_co_u32 v81, s0, 0x1d4, v86
	v_mul_lo_u16 v28, 0x4f, v0
	v_and_b32_e32 v0, 0xffff, v18
	v_add_co_u32 v29, null, 0x270, v86
	v_and_b32_e32 v1, 0xffff, v16
	s_delay_alu instid0(VALU_DEP_4)
	v_lshrrev_b16 v30, 10, v28
	v_and_b32_e32 v2, 0xffff, v81
	v_mul_u32_u24_e32 v31, 0x4ec5, v0
	v_and_b32_e32 v0, 0xffff, v29
	v_mul_u32_u24_e32 v34, 0x4ec5, v1
	v_mul_lo_u16 v1, v30, 13
	v_mul_u32_u24_e32 v35, 0x4ec5, v2
	v_lshrrev_b32_e32 v36, 18, v31
	v_mul_u32_u24_e32 v37, 0x4ec5, v0
	v_lshrrev_b32_e32 v38, 18, v34
	v_sub_nc_u16 v0, v86, v1
	v_lshrrev_b32_e32 v39, 18, v35
	v_mul_lo_u16 v1, v36, 13
	v_lshrrev_b32_e32 v40, 18, v37
	v_mul_lo_u16 v2, v38, 13
	v_and_b32_e32 v41, 0xff, v0
	v_mul_lo_u16 v0, v39, 13
	v_sub_nc_u16 v42, v18, v1
	v_mul_lo_u16 v1, v40, 13
	v_sub_nc_u16 v43, v16, v2
	v_lshlrev_b32_e32 v2, 3, v41
	v_sub_nc_u16 v44, v81, v0
	v_and_b32_e32 v0, 0xffff, v42
	v_sub_nc_u16 v45, v29, v1
	s_load_b128 s[4:7], s[4:5], 0x0
	global_wb scope:SCOPE_SE
	s_wait_dscnt 0x0
	s_wait_kmcnt 0x0
	s_barrier_signal -1
	v_lshlrev_b32_e32 v0, 3, v0
	s_barrier_wait -1
	global_inv scope:SCOPE_SE
	global_load_b64 v[59:60], v2, s[2:3]
	v_and_b32_e32 v3, 0xffff, v45
	global_load_b64 v[65:66], v0, s[2:3]
	v_and_b32_e32 v1, 0xffff, v43
	v_and_b32_e32 v2, 0xffff, v44
	v_lshrrev_b32_e32 v31, 19, v31
	v_lshlrev_b32_e32 v0, 3, v3
	v_lshrrev_b32_e32 v37, 19, v37
	v_lshlrev_b32_e32 v1, 3, v1
	v_lshlrev_b32_e32 v2, 3, v2
	s_clause 0x2
	global_load_b64 v[67:68], v1, s[2:3]
	global_load_b64 v[63:64], v2, s[2:3]
	;; [unrolled: 1-line block ×3, first 2 shown]
	v_and_b32_e32 v0, 0xffff, v86
	v_lshrrev_b16 v46, 11, v28
	v_mul_lo_u16 v48, v31, 26
	v_lshrrev_b32_e32 v35, 19, v35
	v_mul_lo_u16 v51, v37, 26
	v_lshlrev_b32_e32 v87, 3, v0
	v_mul_lo_u16 v47, v46, 26
	v_lshrrev_b32_e32 v34, 19, v34
	v_sub_nc_u16 v48, v18, v48
	v_mul_lo_u16 v50, v35, 26
	v_add_nc_u32_e32 v22, 0x1200, v87
	ds_load_2addr_b64 v[0:3], v87 offset1:156
	v_add_nc_u32_e32 v21, 0x1c00, v87
	v_add_nc_u32_e32 v23, 0x800, v87
	;; [unrolled: 1-line block ×3, first 2 shown]
	ds_load_2addr_b64 v[4:7], v22 offset0:48 offset1:204
	ds_load_2addr_b64 v[8:11], v21 offset0:40 offset1:196
	ds_load_2addr_b64 v[12:15], v23 offset0:56 offset1:212
	ds_load_2addr_b64 v[24:27], v20 offset0:96 offset1:252
	v_sub_nc_u16 v29, v29, v51
	v_sub_nc_u16 v47, v86, v47
	v_mul_lo_u16 v49, v34, 26
	v_sub_nc_u16 v50, v81, v50
	global_wb scope:SCOPE_SE
	s_wait_loadcnt_dscnt 0x0
	s_barrier_signal -1
	s_barrier_wait -1
	v_sub_nc_u16 v49, v16, v49
	global_inv scope:SCOPE_SE
	v_add_co_ci_u32_e64 v82, null, 0, 0, s0
	v_cmp_gt_u16_e64 s0, 52, v86
	v_mul_f32_e32 v51, v24, v64
	v_mul_f32_e32 v55, v26, v62
	s_delay_alu instid0(VALU_DEP_2) | instskip(NEXT) | instid1(VALU_DEP_2)
	v_dual_mul_f32 v54, v27, v62 :: v_dual_fmac_f32 v51, v25, v63
	v_dual_fmac_f32 v55, v27, v61 :: v_dual_and_b32 v30, 0xffff, v30
	s_delay_alu instid0(VALU_DEP_2) | instskip(NEXT) | instid1(VALU_DEP_2)
	v_fma_f32 v26, v26, v61, -v54
	v_sub_f32_e32 v27, v5, v55
	s_delay_alu instid0(VALU_DEP_3) | instskip(NEXT) | instid1(VALU_DEP_3)
	v_mul_u32_u24_e32 v30, 26, v30
	v_sub_f32_e32 v26, v4, v26
	s_delay_alu instid0(VALU_DEP_3) | instskip(NEXT) | instid1(VALU_DEP_3)
	v_fma_f32 v5, v5, 2.0, -v27
	v_add_lshl_u32 v90, v30, v41, 3
	v_mad_u16 v30, v36, 26, v42
	v_mad_u16 v36, v38, 26, v43
	;; [unrolled: 1-line block ×4, first 2 shown]
	s_delay_alu instid0(VALU_DEP_4) | instskip(NEXT) | instid1(VALU_DEP_4)
	v_dual_mul_f32 v45, v6, v60 :: v_dual_and_b32 v30, 0xffff, v30
	v_and_b32_e32 v36, 0xffff, v36
	s_delay_alu instid0(VALU_DEP_4) | instskip(NEXT) | instid1(VALU_DEP_4)
	v_and_b32_e32 v38, 0xffff, v38
	v_and_b32_e32 v39, 0xffff, v39
	s_delay_alu instid0(VALU_DEP_4) | instskip(SKIP_4) | instid1(VALU_DEP_4)
	v_dual_fmac_f32 v45, v7, v59 :: v_dual_lshlrev_b32 v94, 3, v30
	v_dual_mul_f32 v30, v7, v60 :: v_dual_mul_f32 v7, v9, v66
	v_lshlrev_b32_e32 v93, 3, v36
	v_lshlrev_b32_e32 v92, 3, v38
	v_mul_f32_e32 v36, v11, v68
	v_fma_f32 v6, v6, v59, -v30
	v_mul_f32_e32 v30, v8, v66
	v_dual_mul_f32 v38, v10, v68 :: v_dual_lshlrev_b32 v91, 3, v39
	v_mul_f32_e32 v39, v25, v64
	v_fma_f32 v8, v8, v65, -v7
	s_delay_alu instid0(VALU_DEP_4) | instskip(NEXT) | instid1(VALU_DEP_4)
	v_dual_fmac_f32 v30, v9, v65 :: v_dual_and_b32 v41, 0xffff, v48
	v_fmac_f32_e32 v38, v11, v67
	v_fma_f32 v10, v10, v67, -v36
	v_fma_f32 v24, v24, v63, -v39
	v_dual_sub_f32 v6, v0, v6 :: v_dual_and_b32 v47, 0xff, v47
	s_delay_alu instid0(VALU_DEP_3)
	v_dual_sub_f32 v7, v1, v45 :: v_dual_sub_f32 v10, v12, v10
	v_dual_sub_f32 v8, v2, v8 :: v_dual_sub_f32 v9, v3, v30
	v_sub_f32_e32 v11, v13, v38
	v_dual_sub_f32 v24, v14, v24 :: v_dual_and_b32 v43, 0xffff, v50
	v_sub_f32_e32 v25, v15, v51
	v_lshlrev_b32_e32 v40, 3, v47
	v_and_b32_e32 v42, 0xffff, v49
	v_fma_f32 v0, v0, 2.0, -v6
	v_fma_f32 v1, v1, 2.0, -v7
	;; [unrolled: 1-line block ×4, first 2 shown]
	v_and_b32_e32 v44, 0xffff, v29
	v_fma_f32 v12, v12, 2.0, -v10
	v_fma_f32 v13, v13, 2.0, -v11
	;; [unrolled: 1-line block ×5, first 2 shown]
	v_lshlrev_b32_e32 v42, 3, v42
	ds_store_2addr_b64 v90, v[0:1], v[6:7] offset1:13
	ds_store_2addr_b64 v94, v[2:3], v[8:9] offset1:13
	;; [unrolled: 1-line block ×5, first 2 shown]
	global_wb scope:SCOPE_SE
	s_wait_dscnt 0x0
	s_barrier_signal -1
	s_barrier_wait -1
	global_inv scope:SCOPE_SE
	global_load_b64 v[75:76], v40, s[2:3] offset:104
	v_lshlrev_b32_e32 v41, 3, v41
	v_lshlrev_b32_e32 v0, 3, v43
	;; [unrolled: 1-line block ×3, first 2 shown]
	v_lshrrev_b16 v30, 12, v28
	v_mad_u16 v8, v31, 52, v48
	s_clause 0x3
	global_load_b64 v[77:78], v41, s[2:3] offset:104
	global_load_b64 v[73:74], v42, s[2:3] offset:104
	global_load_b64 v[71:72], v0, s[2:3] offset:104
	global_load_b64 v[69:70], v1, s[2:3] offset:104
	ds_load_2addr_b64 v[4:7], v21 offset0:40 offset1:196
	v_mul_lo_u16 v0, v30, 52
	v_and_b32_e32 v1, 0xffff, v46
	v_mad_u16 v9, v34, 52, v49
	v_mad_u16 v10, v35, 52, v50
	;; [unrolled: 1-line block ×3, first 2 shown]
	v_sub_nc_u16 v0, v86, v0
	v_mul_u32_u24_e32 v1, 52, v1
	v_add_nc_u32_e32 v83, 0x900, v87
	s_delay_alu instid0(VALU_DEP_2)
	v_add_lshl_u32 v96, v1, v47, 3
	s_wait_loadcnt_dscnt 0x200
	v_mul_f32_e32 v39, v6, v74
	v_mul_f32_e32 v35, v5, v78
	v_dual_mul_f32 v36, v4, v78 :: v_dual_and_b32 v13, 0xffff, v8
	v_mul_f32_e32 v37, v7, v74
	s_delay_alu instid0(VALU_DEP_4)
	v_dual_fmac_f32 v39, v7, v73 :: v_dual_and_b32 v38, 0xff, v0
	ds_load_2addr_b64 v[0:3], v22 offset0:48 offset1:204
	v_and_b32_e32 v14, 0xffff, v9
	v_fma_f32 v4, v4, v77, -v35
	v_dual_fmac_f32 v36, v5, v77 :: v_dual_and_b32 v15, 0xffff, v10
	v_fma_f32 v6, v6, v73, -v37
	s_delay_alu instid0(VALU_DEP_2)
	v_lshlrev_b32_e32 v97, 3, v15
	s_wait_dscnt 0x0
	v_mul_f32_e32 v31, v3, v76
	ds_load_2addr_b64 v[8:11], v20 offset0:96 offset1:252
	v_mul_f32_e32 v34, v2, v76
	v_fma_f32 v2, v2, v75, -v31
	s_delay_alu instid0(VALU_DEP_2)
	v_dual_fmac_f32 v34, v3, v75 :: v_dual_lshlrev_b32 v99, 3, v13
	s_wait_loadcnt_dscnt 0x100
	v_mul_f32_e32 v41, v8, v72
	s_wait_loadcnt 0x0
	v_mul_f32_e32 v43, v10, v70
	v_mul_f32_e32 v42, v11, v70
	v_mul_f32_e32 v40, v9, v72
	v_dual_fmac_f32 v41, v9, v71 :: v_dual_and_b32 v12, 0xffff, v12
	s_delay_alu instid0(VALU_DEP_4) | instskip(NEXT) | instid1(VALU_DEP_4)
	v_fmac_f32_e32 v43, v11, v69
	v_fma_f32 v10, v10, v69, -v42
	s_delay_alu instid0(VALU_DEP_4) | instskip(NEXT) | instid1(VALU_DEP_4)
	v_fma_f32 v8, v8, v71, -v40
	v_lshlrev_b32_e32 v95, 3, v12
	s_delay_alu instid0(VALU_DEP_3)
	v_dual_sub_f32 v11, v1, v43 :: v_dual_sub_f32 v10, v0, v10
	v_lshlrev_b32_e32 v98, 3, v14
	ds_load_2addr_b64 v[12:15], v87 offset1:156
	ds_load_2addr_b64 v[24:27], v23 offset0:56 offset1:212
	global_wb scope:SCOPE_SE
	s_wait_dscnt 0x0
	v_fma_f32 v1, v1, 2.0, -v11
	v_fma_f32 v0, v0, 2.0, -v10
	s_barrier_signal -1
	s_barrier_wait -1
	global_inv scope:SCOPE_SE
	v_sub_f32_e32 v2, v12, v2
	v_dual_sub_f32 v3, v13, v34 :: v_dual_sub_f32 v4, v14, v4
	v_dual_sub_f32 v5, v15, v36 :: v_dual_sub_f32 v6, v24, v6
	v_sub_f32_e32 v7, v25, v39
	v_mad_co_u64_u32 v[28:29], null, 0x48, v38, s[2:3]
	v_dual_sub_f32 v8, v26, v8 :: v_dual_sub_f32 v9, v27, v41
	v_fma_f32 v12, v12, 2.0, -v2
	v_fma_f32 v13, v13, 2.0, -v3
	;; [unrolled: 1-line block ×8, first 2 shown]
	ds_store_2addr_b64 v96, v[12:13], v[2:3] offset1:26
	ds_store_2addr_b64 v99, v[14:15], v[4:5] offset1:26
	ds_store_2addr_b64 v98, v[24:25], v[6:7] offset1:26
	ds_store_2addr_b64 v97, v[26:27], v[8:9] offset1:26
	ds_store_2addr_b64 v95, v[0:1], v[10:11] offset1:26
	global_wb scope:SCOPE_SE
	s_wait_dscnt 0x0
	s_barrier_signal -1
	s_barrier_wait -1
	global_inv scope:SCOPE_SE
	s_clause 0x4
	global_load_b128 v[12:15], v[28:29], off offset:312
	global_load_b128 v[8:11], v[28:29], off offset:328
	;; [unrolled: 1-line block ×4, first 2 shown]
	global_load_b64 v[79:80], v[28:29], off offset:376
	v_and_b32_e32 v34, 0xffff, v30
	ds_load_2addr_b64 v[24:27], v87 offset1:156
	ds_load_2addr_b64 v[28:31], v23 offset0:56 offset1:212
	v_add_nc_u32_e32 v100, 0x2000, v87
	s_wait_loadcnt_dscnt 0x400
	v_mul_f32_e32 v47, v28, v15
	s_wait_loadcnt 0x3
	v_mul_f32_e32 v49, v30, v9
	v_mul_u32_u24_e32 v23, 0x208, v34
	ds_load_2addr_b64 v[34:37], v22 offset0:48 offset1:204
	v_dual_mul_f32 v45, v26, v13 :: v_dual_add_nc_u32 v84, 0x1400, v87
	v_mul_f32_e32 v46, v29, v15
	v_add_lshl_u32 v89, v23, v38, 3
	ds_load_2addr_b64 v[38:41], v21 offset0:40 offset1:196
	ds_load_2addr_b64 v[20:23], v20 offset0:96 offset1:252
	v_mul_f32_e32 v44, v27, v13
	v_dual_mul_f32 v48, v31, v9 :: v_dual_fmac_f32 v47, v29, v14
	v_add_nc_u32_e32 v42, 0x400, v89
	v_add_nc_u32_e32 v43, 0x800, v89
	v_fmac_f32_e32 v45, v27, v12
	v_fma_f32 v27, v28, v14, -v46
	v_fma_f32 v28, v30, v8, -v48
	v_fmac_f32_e32 v49, v31, v8
	global_wb scope:SCOPE_SE
	s_wait_loadcnt_dscnt 0x0
	s_barrier_signal -1
	s_barrier_wait -1
	global_inv scope:SCOPE_SE
	v_mul_f32_e32 v50, v35, v11
	v_dual_mul_f32 v51, v34, v11 :: v_dual_mul_f32 v54, v37, v5
	v_mul_f32_e32 v55, v36, v5
	v_mul_f32_e32 v101, v39, v7
	v_dual_mul_f32 v102, v38, v7 :: v_dual_mul_f32 v107, v23, v80
	v_mul_f32_e32 v105, v21, v3
	v_dual_mul_f32 v106, v20, v3 :: v_dual_mul_f32 v103, v41, v1
	v_mul_f32_e32 v104, v40, v1
	v_dual_mul_f32 v108, v22, v80 :: v_dual_fmac_f32 v51, v35, v10
	v_fma_f32 v26, v26, v12, -v44
	v_fma_f32 v29, v34, v10, -v50
	v_dual_fmac_f32 v55, v37, v4 :: v_dual_fmac_f32 v102, v39, v6
	v_fma_f32 v31, v38, v6, -v101
	v_fma_f32 v20, v20, v2, -v105
	s_delay_alu instid0(VALU_DEP_4) | instskip(SKIP_2) | instid1(VALU_DEP_3)
	v_dual_fmac_f32 v106, v21, v2 :: v_dual_sub_f32 v37, v27, v29
	v_fma_f32 v30, v36, v4, -v54
	v_fma_f32 v34, v40, v0, -v103
	v_dual_fmac_f32 v104, v41, v0 :: v_dual_sub_f32 v35, v47, v106
	v_fma_f32 v21, v22, v79, -v107
	v_dual_fmac_f32 v108, v23, v79 :: v_dual_sub_f32 v103, v102, v106
	v_dual_add_f32 v22, v24, v27 :: v_dual_add_f32 v39, v27, v20
	v_dual_add_f32 v23, v29, v31 :: v_dual_sub_f32 v36, v51, v102
	v_dual_sub_f32 v38, v20, v31 :: v_dual_sub_f32 v41, v31, v20
	v_dual_sub_f32 v40, v29, v27 :: v_dual_sub_f32 v27, v27, v20
	v_dual_add_f32 v44, v25, v47 :: v_dual_add_f32 v101, v47, v106
	v_dual_add_f32 v46, v51, v102 :: v_dual_add_f32 v105, v26, v28
	v_dual_sub_f32 v50, v47, v51 :: v_dual_sub_f32 v109, v49, v108
	v_dual_sub_f32 v54, v106, v102 :: v_dual_sub_f32 v47, v51, v47
	v_dual_add_f32 v116, v45, v49 :: v_dual_add_f32 v117, v55, v104
	v_dual_sub_f32 v48, v29, v31 :: v_dual_add_f32 v107, v30, v34
	v_dual_sub_f32 v110, v55, v104 :: v_dual_sub_f32 v111, v28, v30
	v_dual_sub_f32 v112, v21, v34 :: v_dual_add_f32 v113, v28, v21
	v_dual_sub_f32 v114, v30, v28 :: v_dual_sub_f32 v119, v49, v55
	v_dual_sub_f32 v115, v34, v21 :: v_dual_sub_f32 v120, v108, v104
	v_dual_sub_f32 v28, v28, v21 :: v_dual_add_f32 v121, v49, v108
	v_dual_sub_f32 v118, v30, v34 :: v_dual_sub_f32 v49, v55, v49
	v_sub_f32_e32 v122, v104, v108
	v_dual_add_f32 v22, v22, v29 :: v_dual_add_f32 v29, v44, v51
	v_fma_f32 v123, -0.5, v23, v24
	v_add_f32_e32 v23, v37, v38
	v_fma_f32 v37, -0.5, v39, v24
	v_add_f32_e32 v24, v40, v41
	;; [unrolled: 2-line block ×4, first 2 shown]
	v_dual_add_f32 v47, v116, v55 :: v_dual_add_f32 v30, v105, v30
	v_add_f32_e32 v51, v119, v120
	v_fma_f32 v39, -0.5, v107, v26
	v_add_f32_e32 v40, v111, v112
	v_dual_fmac_f32 v26, -0.5, v113 :: v_dual_add_f32 v49, v49, v122
	v_dual_add_f32 v46, v114, v115 :: v_dual_fmamk_f32 v55, v36, 0xbf737871, v37
	v_fma_f32 v50, -0.5, v117, v45
	v_dual_fmac_f32 v45, -0.5, v121 :: v_dual_add_f32 v22, v22, v31
	v_fmac_f32_e32 v37, 0x3f737871, v36
	v_dual_fmamk_f32 v54, v35, 0x3f737871, v123 :: v_dual_add_f32 v29, v29, v102
	v_dual_fmac_f32 v123, 0xbf737871, v35 :: v_dual_add_f32 v30, v30, v34
	s_delay_alu instid0(VALU_DEP_4)
	v_dual_fmamk_f32 v101, v27, 0xbf737871, v44 :: v_dual_add_f32 v22, v22, v20
	v_dual_fmac_f32 v44, 0x3f737871, v27 :: v_dual_fmamk_f32 v31, v109, 0x3f737871, v39
	v_dual_fmamk_f32 v102, v48, 0x3f737871, v41 :: v_dual_add_f32 v47, v47, v104
	v_dual_fmac_f32 v41, 0xbf737871, v48 :: v_dual_fmamk_f32 v34, v110, 0xbf737871, v26
	v_fmac_f32_e32 v39, 0xbf737871, v109
	v_fmac_f32_e32 v26, 0x3f737871, v110
	s_delay_alu instid0(VALU_DEP_4)
	v_dual_fmac_f32 v123, 0xbf167918, v36 :: v_dual_fmac_f32 v102, 0xbf167918, v27
	v_dual_add_f32 v29, v29, v106 :: v_dual_fmac_f32 v44, 0x3f167918, v48
	v_fmac_f32_e32 v41, 0x3f167918, v27
	v_add_f32_e32 v27, v30, v21
	v_fmamk_f32 v103, v28, 0xbf737871, v50
	v_fmac_f32_e32 v50, 0x3f737871, v28
	v_add_f32_e32 v30, v47, v108
	v_fmamk_f32 v104, v118, 0x3f737871, v45
	v_fmac_f32_e32 v45, 0xbf737871, v118
	v_dual_fmac_f32 v54, 0x3f167918, v36 :: v_dual_fmac_f32 v55, 0x3f167918, v35
	v_dual_fmac_f32 v37, 0xbf167918, v35 :: v_dual_fmac_f32 v26, 0xbf167918, v109
	v_dual_fmac_f32 v31, 0x3f167918, v110 :: v_dual_fmac_f32 v34, 0x3f167918, v109
	v_add_f32_e32 v21, v29, v30
	v_dual_fmac_f32 v39, 0xbf167918, v110 :: v_dual_fmac_f32 v104, 0xbf167918, v28
	v_dual_fmac_f32 v54, 0x3e9e377a, v23 :: v_dual_fmac_f32 v55, 0x3e9e377a, v24
	s_delay_alu instid0(VALU_DEP_4) | instskip(SKIP_1) | instid1(VALU_DEP_4)
	v_dual_fmac_f32 v31, 0x3e9e377a, v40 :: v_dual_fmac_f32 v26, 0x3e9e377a, v46
	v_fmac_f32_e32 v101, 0xbf167918, v48
	v_dual_fmac_f32 v39, 0x3e9e377a, v40 :: v_dual_fmac_f32 v104, 0x3e9e377a, v49
	v_dual_add_f32 v20, v22, v27 :: v_dual_fmac_f32 v103, 0xbf167918, v118
	v_sub_f32_e32 v22, v22, v27
	v_dual_fmac_f32 v50, 0x3f167918, v118 :: v_dual_fmac_f32 v45, 0x3f167918, v28
	v_dual_fmac_f32 v123, 0x3e9e377a, v23 :: v_dual_fmac_f32 v44, 0x3e9e377a, v38
	;; [unrolled: 1-line block ×4, first 2 shown]
	v_dual_fmac_f32 v103, 0x3e9e377a, v51 :: v_dual_mul_f32 v24, 0x3e9e377a, v26
	v_dual_fmac_f32 v50, 0x3e9e377a, v51 :: v_dual_sub_f32 v23, v29, v30
	v_mul_f32_e32 v46, 0xbf167918, v31
	v_fmac_f32_e32 v101, 0x3e9e377a, v38
	v_mul_f32_e32 v38, 0x3f737871, v104
	v_fmac_f32_e32 v45, 0x3e9e377a, v49
	v_dual_mul_f32 v25, 0x3f4f1bbd, v39 :: v_dual_mul_f32 v28, 0x3f4f1bbd, v50
	v_mul_f32_e32 v47, 0xbf737871, v34
	s_delay_alu instid0(VALU_DEP_4)
	v_fmac_f32_e32 v38, 0x3e9e377a, v34
	v_mul_f32_e32 v35, 0x3f167918, v103
	v_fma_f32 v34, 0x3f737871, v45, -v24
	v_mul_f32_e32 v27, 0x3e9e377a, v45
	v_fma_f32 v45, 0x3f167918, v50, -v25
	v_fma_f32 v49, 0xbf167918, v39, -v28
	s_delay_alu instid0(VALU_DEP_4) | instskip(NEXT) | instid1(VALU_DEP_4)
	v_add_f32_e32 v28, v37, v34
	v_fma_f32 v48, 0xbf737871, v26, -v27
	v_fmac_f32_e32 v46, 0x3f4f1bbd, v103
	v_dual_add_f32 v26, v55, v38 :: v_dual_fmac_f32 v35, 0x3f4f1bbd, v31
	v_sub_f32_e32 v38, v55, v38
	v_dual_add_f32 v30, v123, v45 :: v_dual_fmac_f32 v47, 0x3e9e377a, v104
	s_delay_alu instid0(VALU_DEP_3) | instskip(SKIP_1) | instid1(VALU_DEP_3)
	v_dual_add_f32 v29, v41, v48 :: v_dual_sub_f32 v36, v54, v35
	v_dual_add_f32 v24, v54, v35 :: v_dual_add_f32 v25, v101, v46
	v_dual_add_f32 v27, v102, v47 :: v_dual_sub_f32 v40, v37, v34
	v_add_f32_e32 v31, v44, v49
	v_sub_f32_e32 v37, v101, v46
	v_dual_sub_f32 v39, v102, v47 :: v_dual_sub_f32 v34, v123, v45
	v_sub_f32_e32 v41, v41, v48
	v_sub_f32_e32 v35, v44, v49
	ds_store_2addr_b64 v89, v[20:21], v[24:25] offset1:52
	ds_store_2addr_b64 v89, v[26:27], v[28:29] offset0:104 offset1:156
	ds_store_2addr_b64 v42, v[30:31], v[22:23] offset0:80 offset1:132
	;; [unrolled: 1-line block ×4, first 2 shown]
	global_wb scope:SCOPE_SE
	s_wait_dscnt 0x0
	s_barrier_signal -1
	s_barrier_wait -1
	global_inv scope:SCOPE_SE
	ds_load_2addr_b64 v[44:47], v87 offset1:156
	ds_load_2addr_b64 v[40:43], v83 offset0:24 offset1:232
	ds_load_2addr_b64 v[48:51], v100 offset0:16 offset1:172
	;; [unrolled: 1-line block ×3, first 2 shown]
	ds_load_b64 v[54:55], v87 offset:10816
	s_and_saveexec_b32 s1, s0
	s_cbranch_execz .LBB0_9
; %bb.8:
	ds_load_b64 v[34:35], v87 offset:3744
	ds_load_b64 v[52:53], v87 offset:7904
	;; [unrolled: 1-line block ×3, first 2 shown]
.LBB0_9:
	s_wait_alu 0xfffe
	s_or_b32 exec_lo, exec_lo, s1
	v_lshlrev_b64_e32 v[18:19], 4, v[18:19]
	v_lshlrev_b64_e32 v[16:17], 4, v[16:17]
	v_lshlrev_b32_e32 v20, 4, v86
	s_delay_alu instid0(VALU_DEP_3) | instskip(SKIP_1) | instid1(VALU_DEP_4)
	v_add_co_u32 v18, s1, s2, v18
	s_wait_alu 0xf1ff
	v_add_co_ci_u32_e64 v19, s1, s3, v19, s1
	s_delay_alu instid0(VALU_DEP_4)
	v_add_co_u32 v16, s1, s2, v16
	s_wait_alu 0xf1ff
	v_add_co_ci_u32_e64 v17, s1, s3, v17, s1
	s_clause 0x2
	global_load_b128 v[28:31], v20, s[2:3] offset:4056
	global_load_b128 v[24:27], v[16:17], off offset:4056
	global_load_b128 v[20:23], v[18:19], off offset:4056
	v_add_co_u32 v18, s1, 0xffffffcc, v86
	s_wait_alu 0xf1ff
	v_add_co_ci_u32_e64 v19, null, 0, -1, s1
	s_delay_alu instid0(VALU_DEP_2) | instskip(NEXT) | instid1(VALU_DEP_2)
	v_cndmask_b32_e64 v16, v18, v81, s0
	v_cndmask_b32_e64 v17, v19, v82, s0
	s_delay_alu instid0(VALU_DEP_1) | instskip(NEXT) | instid1(VALU_DEP_1)
	v_lshlrev_b64_e32 v[16:17], 4, v[16:17]
	v_add_co_u32 v16, s1, s2, v16
	s_wait_alu 0xf1ff
	s_delay_alu instid0(VALU_DEP_2)
	v_add_co_ci_u32_e64 v17, s1, s3, v17, s1
	global_load_b128 v[16:19], v[16:17], off offset:4056
	s_wait_loadcnt_dscnt 0x303
	v_mul_f32_e32 v81, v43, v29
	s_wait_dscnt 0x2
	v_dual_mul_f32 v82, v42, v29 :: v_dual_mul_f32 v101, v49, v31
	s_wait_loadcnt_dscnt 0x201
	v_dual_mul_f32 v102, v48, v31 :: v_dual_mul_f32 v103, v39, v25
	v_fma_f32 v42, v42, v28, -v81
	s_wait_loadcnt 0x1
	v_dual_fmac_f32 v82, v43, v28 :: v_dual_mul_f32 v81, v36, v21
	v_fma_f32 v43, v48, v30, -v101
	v_dual_fmac_f32 v102, v49, v30 :: v_dual_mul_f32 v49, v51, v23
	v_dual_mul_f32 v48, v37, v21 :: v_dual_mul_f32 v101, v50, v23
	s_wait_dscnt 0x0
	v_dual_mul_f32 v104, v38, v25 :: v_dual_mul_f32 v105, v55, v27
	v_dual_mul_f32 v106, v54, v27 :: v_dual_add_f32 v107, v44, v42
	v_dual_add_f32 v108, v42, v43 :: v_dual_fmac_f32 v81, v37, v20
	s_delay_alu instid0(VALU_DEP_3)
	v_dual_sub_f32 v109, v82, v102 :: v_dual_fmac_f32 v104, v39, v24
	v_fma_f32 v111, v36, v20, -v48
	v_add_f32_e32 v110, v45, v82
	v_add_f32_e32 v82, v82, v102
	v_fma_f32 v50, v50, v22, -v49
	v_dual_sub_f32 v42, v42, v43 :: v_dual_fmac_f32 v101, v51, v22
	v_fma_f32 v38, v38, v24, -v103
	v_fma_f32 v54, v54, v26, -v105
	v_fmac_f32_e32 v106, v55, v26
	v_add_f32_e32 v36, v107, v43
	v_fma_f32 v48, -0.5, v108, v44
	s_wait_loadcnt 0x0
	v_mul_f32_e32 v43, v53, v17
	v_fma_f32 v49, -0.5, v82, v45
	v_dual_mul_f32 v82, v52, v17 :: v_dual_add_f32 v51, v111, v50
	v_dual_mul_f32 v44, v33, v19 :: v_dual_add_f32 v103, v47, v81
	v_add_f32_e32 v45, v46, v111
	v_dual_add_f32 v37, v110, v102 :: v_dual_mul_f32 v102, v32, v19
	v_sub_f32_e32 v55, v81, v101
	v_add_f32_e32 v81, v81, v101
	v_sub_f32_e32 v105, v111, v50
	v_dual_add_f32 v108, v38, v54 :: v_dual_add_f32 v111, v41, v104
	v_dual_sub_f32 v110, v104, v106 :: v_dual_fmamk_f32 v39, v42, 0xbf5db3d7, v49
	v_add_f32_e32 v104, v104, v106
	v_dual_fmac_f32 v49, 0x3f5db3d7, v42 :: v_dual_fmac_f32 v82, v53, v16
	v_fma_f32 v42, v52, v16, -v43
	v_fma_f32 v32, v32, v18, -v44
	v_fma_f32 v46, -0.5, v51, v46
	v_dual_add_f32 v51, v103, v101 :: v_dual_fmac_f32 v102, v33, v18
	v_fmac_f32_e32 v41, -0.5, v104
	v_add_f32_e32 v107, v40, v38
	v_dual_sub_f32 v112, v38, v54 :: v_dual_fmac_f32 v47, -0.5, v81
	v_fma_f32 v40, -0.5, v108, v40
	v_add_f32_e32 v33, v42, v32
	v_add_f32_e32 v81, v82, v102
	v_sub_f32_e32 v101, v82, v102
	v_add_f32_e32 v82, v35, v82
	s_delay_alu instid0(VALU_DEP_4) | instskip(SKIP_3) | instid1(VALU_DEP_4)
	v_dual_add_f32 v43, v34, v42 :: v_dual_fmac_f32 v34, -0.5, v33
	v_fmamk_f32 v38, v109, 0x3f5db3d7, v48
	v_fmac_f32_e32 v48, 0xbf5db3d7, v109
	v_dual_add_f32 v52, v107, v54 :: v_dual_sub_f32 v103, v42, v32
	v_add_f32_e32 v42, v43, v32
	v_fmamk_f32 v32, v101, 0x3f5db3d7, v34
	v_dual_fmamk_f32 v54, v110, 0x3f5db3d7, v40 :: v_dual_fmac_f32 v35, -0.5, v81
	v_add_f32_e32 v50, v45, v50
	v_add_f32_e32 v53, v111, v106
	v_fmamk_f32 v44, v55, 0x3f5db3d7, v46
	v_dual_fmac_f32 v46, 0xbf5db3d7, v55 :: v_dual_fmamk_f32 v45, v105, 0xbf5db3d7, v47
	v_fmac_f32_e32 v47, 0x3f5db3d7, v105
	v_dual_fmac_f32 v40, 0xbf5db3d7, v110 :: v_dual_fmamk_f32 v55, v112, 0xbf5db3d7, v41
	v_fmac_f32_e32 v41, 0x3f5db3d7, v112
	v_dual_add_f32 v43, v82, v102 :: v_dual_fmac_f32 v34, 0xbf5db3d7, v101
	v_fmamk_f32 v33, v103, 0xbf5db3d7, v35
	v_fmac_f32_e32 v35, 0x3f5db3d7, v103
	ds_store_2addr_b64 v87, v[36:37], v[50:51] offset1:156
	ds_store_2addr_b64 v100, v[48:49], v[46:47] offset0:16 offset1:172
	ds_store_2addr_b64 v83, v[52:53], v[38:39] offset0:24 offset1:232
	;; [unrolled: 1-line block ×3, first 2 shown]
	ds_store_b64 v87, v[40:41] offset:10816
	s_and_saveexec_b32 s1, s0
	s_cbranch_execz .LBB0_11
; %bb.10:
	ds_store_b64 v87, v[42:43] offset:3744
	ds_store_b64 v87, v[32:33] offset:7904
	;; [unrolled: 1-line block ×3, first 2 shown]
.LBB0_11:
	s_wait_alu 0xfffe
	s_or_b32 exec_lo, exec_lo, s1
	global_wb scope:SCOPE_SE
	s_wait_dscnt 0x0
	s_barrier_signal -1
	s_barrier_wait -1
	global_inv scope:SCOPE_SE
	s_and_saveexec_b32 s1, vcc_lo
	s_cbranch_execz .LBB0_13
; %bb.12:
	global_load_b64 v[81:82], v85, s[8:9] offset:12480
	s_add_nc_u64 s[2:3], s[8:9], 0x30c0
	s_clause 0xb
	global_load_b64 v[120:121], v85, s[2:3] offset:960
	global_load_b64 v[122:123], v85, s[2:3] offset:1920
	;; [unrolled: 1-line block ×12, first 2 shown]
	ds_load_b64 v[83:84], v87
	v_add_nc_u32_e32 v147, 0x1800, v85
	v_add_nc_u32_e32 v149, 0x2800, v85
	;; [unrolled: 1-line block ×4, first 2 shown]
	s_wait_loadcnt_dscnt 0xc00
	v_mul_f32_e32 v100, v84, v82
	v_mul_f32_e32 v101, v83, v82
	s_delay_alu instid0(VALU_DEP_2) | instskip(NEXT) | instid1(VALU_DEP_2)
	v_fma_f32 v100, v83, v81, -v100
	v_fmac_f32_e32 v101, v84, v81
	ds_store_b64 v87, v[100:101]
	ds_load_2addr_b64 v[81:84], v85 offset0:120 offset1:240
	v_add_nc_u32_e32 v148, 0x2000, v85
	ds_load_2addr_b64 v[100:103], v145 offset0:104 offset1:224
	ds_load_2addr_b64 v[104:107], v146 offset0:88 offset1:208
	;; [unrolled: 1-line block ×3, first 2 shown]
	s_wait_loadcnt_dscnt 0xa03
	v_mul_f32_e32 v151, v84, v123
	ds_load_2addr_b64 v[112:115], v148 offset0:56 offset1:176
	ds_load_2addr_b64 v[116:119], v149 offset0:40 offset1:160
	v_mul_f32_e32 v150, v82, v121
	s_wait_loadcnt_dscnt 0x804
	v_dual_mul_f32 v144, v81, v121 :: v_dual_mul_f32 v153, v103, v127
	v_dual_mul_f32 v121, v83, v123 :: v_dual_mul_f32 v152, v101, v125
	v_mul_f32_e32 v123, v100, v125
	s_wait_loadcnt_dscnt 0x703
	v_dual_mul_f32 v125, v102, v127 :: v_dual_mul_f32 v154, v105, v129
	s_wait_loadcnt 0x6
	v_mul_f32_e32 v155, v107, v131
	v_mul_f32_e32 v127, v104, v129
	s_wait_loadcnt_dscnt 0x502
	v_dual_mul_f32 v129, v106, v131 :: v_dual_mul_f32 v156, v109, v133
	v_mul_f32_e32 v131, v108, v133
	s_wait_loadcnt 0x4
	v_mul_f32_e32 v157, v111, v135
	v_mul_f32_e32 v133, v110, v135
	v_dual_fmac_f32 v144, v82, v120 :: v_dual_fmac_f32 v121, v84, v122
	v_fmac_f32_e32 v123, v101, v124
	s_wait_loadcnt_dscnt 0x301
	v_mul_f32_e32 v158, v113, v137
	s_wait_loadcnt_dscnt 0x100
	v_mul_f32_e32 v160, v117, v141
	v_mul_f32_e32 v135, v112, v137
	;; [unrolled: 1-line block ×5, first 2 shown]
	s_wait_loadcnt 0x0
	v_mul_f32_e32 v161, v119, v143
	v_mul_f32_e32 v141, v118, v143
	v_fma_f32 v143, v81, v120, -v150
	v_fma_f32 v120, v83, v122, -v151
	;; [unrolled: 1-line block ×4, first 2 shown]
	v_fmac_f32_e32 v125, v103, v126
	v_fma_f32 v126, v104, v128, -v154
	v_fmac_f32_e32 v127, v105, v128
	v_fma_f32 v128, v106, v130, -v155
	;; [unrolled: 2-line block ×8, first 2 shown]
	v_fmac_f32_e32 v141, v119, v142
	ds_store_2addr_b64 v85, v[143:144], v[120:121] offset0:120 offset1:240
	ds_store_2addr_b64 v145, v[122:123], v[124:125] offset0:104 offset1:224
	;; [unrolled: 1-line block ×6, first 2 shown]
.LBB0_13:
	s_wait_alu 0xfffe
	s_or_b32 exec_lo, exec_lo, s1
	global_wb scope:SCOPE_SE
	s_wait_dscnt 0x0
	s_barrier_signal -1
	s_barrier_wait -1
	global_inv scope:SCOPE_SE
	s_and_saveexec_b32 s1, vcc_lo
	s_cbranch_execz .LBB0_15
; %bb.14:
	v_add_nc_u32_e32 v32, 0x400, v87
	v_add_nc_u32_e32 v33, 0xc00, v87
	;; [unrolled: 1-line block ×5, first 2 shown]
	ds_load_2addr_b64 v[36:39], v87 offset1:120
	ds_load_2addr_b64 v[48:51], v32 offset0:112 offset1:232
	ds_load_2addr_b64 v[44:47], v33 offset0:96 offset1:216
	ds_load_2addr_b64 v[52:55], v34 offset0:80 offset1:200
	ds_load_2addr_b64 v[40:43], v35 offset0:64 offset1:184
	ds_load_2addr_b64 v[32:35], v57 offset0:48 offset1:168
	ds_load_b64 v[57:58], v87 offset:11520
.LBB0_15:
	s_wait_alu 0xfffe
	s_or_b32 exec_lo, exec_lo, s1
	s_wait_dscnt 0x0
	v_add_f32_e32 v116, v58, v39
	v_sub_f32_e32 v112, v39, v58
	v_dual_add_f32 v100, v57, v38 :: v_dual_add_f32 v101, v34, v48
	v_dual_sub_f32 v102, v38, v57 :: v_dual_sub_f32 v113, v49, v35
	s_delay_alu instid0(VALU_DEP_4) | instskip(NEXT) | instid1(VALU_DEP_4)
	v_mul_f32_e32 v125, 0x3f116cb1, v116
	v_dual_mul_f32 v119, 0xbf52af12, v112 :: v_dual_add_f32 v118, v35, v49
	v_mul_f32_e32 v131, 0xbf7e222b, v112
	s_delay_alu instid0(VALU_DEP_4) | instskip(NEXT) | instid1(VALU_DEP_3)
	v_dual_mul_f32 v124, 0xbf6f5d39, v113 :: v_dual_sub_f32 v103, v48, v34
	v_fma_f32 v81, 0x3f116cb1, v100, -v119
	v_fmamk_f32 v82, v102, 0xbf52af12, v125
	s_delay_alu instid0(VALU_DEP_4) | instskip(NEXT) | instid1(VALU_DEP_4)
	v_fma_f32 v83, 0x3df6dbef, v100, -v131
	v_fma_f32 v104, 0xbeb58ec6, v101, -v124
	v_dual_sub_f32 v114, v51, v33 :: v_dual_sub_f32 v105, v50, v32
	v_add_f32_e32 v81, v36, v81
	v_dual_mul_f32 v135, 0x3df6dbef, v116 :: v_dual_add_f32 v82, v37, v82
	v_dual_mul_f32 v128, 0xbeb58ec6, v118 :: v_dual_add_f32 v83, v36, v83
	s_delay_alu instid0(VALU_DEP_2) | instskip(SKIP_3) | instid1(VALU_DEP_4)
	v_dual_add_f32 v81, v104, v81 :: v_dual_fmamk_f32 v84, v102, 0xbf7e222b, v135
	v_mul_f32_e32 v134, 0xbe750f2a, v113
	v_dual_mul_f32 v140, 0xbf788fa5, v118 :: v_dual_sub_f32 v115, v45, v43
	v_add_f32_e32 v104, v32, v50
	v_dual_add_f32 v84, v37, v84 :: v_dual_mul_f32 v127, 0xbe750f2a, v114
	s_delay_alu instid0(VALU_DEP_4) | instskip(SKIP_2) | instid1(VALU_DEP_4)
	v_fma_f32 v107, 0xbf788fa5, v101, -v134
	v_dual_mul_f32 v136, 0x3f6f5d39, v114 :: v_dual_add_f32 v123, v41, v47
	v_mul_f32_e32 v129, 0x3f29c268, v115
	v_fma_f32 v109, 0xbf788fa5, v104, -v127
	v_fmamk_f32 v106, v103, 0xbf6f5d39, v128
	v_add_f32_e32 v122, v33, v51
	v_add_f32_e32 v83, v107, v83
	v_sub_f32_e32 v107, v44, v42
	s_delay_alu instid0(VALU_DEP_4) | instskip(SKIP_4) | instid1(VALU_DEP_4)
	v_dual_add_f32 v81, v109, v81 :: v_dual_add_f32 v82, v106, v82
	v_dual_mul_f32 v139, 0x3eedf032, v115 :: v_dual_add_f32 v106, v42, v44
	v_fma_f32 v109, 0xbeb58ec6, v104, -v136
	v_fmamk_f32 v108, v103, 0xbe750f2a, v140
	v_dual_mul_f32 v143, 0xbeb58ec6, v122 :: v_dual_add_f32 v120, v43, v45
	v_fma_f32 v111, 0xbf3f9e67, v106, -v129
	s_delay_alu instid0(VALU_DEP_4) | instskip(NEXT) | instid1(VALU_DEP_4)
	v_dual_mul_f32 v130, 0xbf788fa5, v122 :: v_dual_add_f32 v83, v109, v83
	v_add_f32_e32 v84, v108, v84
	s_delay_alu instid0(VALU_DEP_3) | instskip(NEXT) | instid1(VALU_DEP_3)
	v_dual_fmamk_f32 v110, v105, 0x3f6f5d39, v143 :: v_dual_add_f32 v81, v111, v81
	v_dual_fmamk_f32 v108, v105, 0xbe750f2a, v130 :: v_dual_sub_f32 v117, v47, v41
	v_sub_f32_e32 v109, v46, v40
	s_delay_alu instid0(VALU_DEP_3) | instskip(NEXT) | instid1(VALU_DEP_3)
	v_dual_add_f32 v84, v110, v84 :: v_dual_mul_f32 v137, 0x3df6dbef, v123
	v_dual_add_f32 v82, v108, v82 :: v_dual_mul_f32 v145, 0x3f62ad3f, v120
	s_delay_alu instid0(VALU_DEP_4)
	v_mul_f32_e32 v133, 0x3f7e222b, v117
	v_fma_f32 v110, 0x3f62ad3f, v106, -v139
	v_mul_f32_e32 v132, 0xbf3f9e67, v120
	v_mul_f32_e32 v141, 0xbf52af12, v117
	v_fmamk_f32 v111, v107, 0x3eedf032, v145
	global_wb scope:SCOPE_SE
	v_dual_add_f32 v83, v110, v83 :: v_dual_fmamk_f32 v108, v107, 0x3f29c268, v132
	v_fmamk_f32 v110, v109, 0x3f7e222b, v137
	v_dual_add_f32 v84, v111, v84 :: v_dual_sub_f32 v111, v52, v54
	s_barrier_signal -1
	s_delay_alu instid0(VALU_DEP_3)
	v_add_f32_e32 v82, v108, v82
	v_add_f32_e32 v108, v40, v46
	s_barrier_wait -1
	global_inv scope:SCOPE_SE
	v_fma_f32 v121, 0x3df6dbef, v108, -v133
	v_fma_f32 v126, 0x3f116cb1, v108, -v141
	s_delay_alu instid0(VALU_DEP_2) | instskip(NEXT) | instid1(VALU_DEP_2)
	v_add_f32_e32 v81, v121, v81
	v_add_f32_e32 v83, v126, v83
	v_dual_sub_f32 v121, v53, v55 :: v_dual_add_f32 v126, v55, v53
	v_mul_f32_e32 v146, 0x3f116cb1, v123
	s_delay_alu instid0(VALU_DEP_2) | instskip(NEXT) | instid1(VALU_DEP_3)
	v_mul_f32_e32 v144, 0xbf29c268, v121
	v_mul_f32_e32 v142, 0x3f62ad3f, v126
	v_add_f32_e32 v82, v110, v82
	v_add_f32_e32 v110, v54, v52
	v_fmamk_f32 v148, v109, 0xbf52af12, v146
	s_delay_alu instid0(VALU_DEP_4) | instskip(NEXT) | instid1(VALU_DEP_3)
	v_dual_mul_f32 v138, 0x3eedf032, v121 :: v_dual_fmamk_f32 v149, v111, 0x3eedf032, v142
	v_fma_f32 v150, 0xbf3f9e67, v110, -v144
	s_delay_alu instid0(VALU_DEP_3) | instskip(NEXT) | instid1(VALU_DEP_2)
	v_add_f32_e32 v84, v148, v84
	v_dual_add_f32 v82, v149, v82 :: v_dual_add_f32 v83, v150, v83
	v_mul_f32_e32 v147, 0xbf3f9e67, v126
	v_fma_f32 v148, 0x3f62ad3f, v110, -v138
	s_delay_alu instid0(VALU_DEP_2) | instskip(NEXT) | instid1(VALU_DEP_1)
	v_fmamk_f32 v151, v111, 0xbf29c268, v147
	v_dual_add_f32 v81, v148, v81 :: v_dual_add_f32 v84, v151, v84
	s_and_saveexec_b32 s1, vcc_lo
	s_cbranch_execz .LBB0_17
; %bb.16:
	v_dual_mul_f32 v150, 0xbf29c268, v102 :: v_dual_mul_f32 v181, 0xbf29c268, v111
	v_dual_mul_f32 v151, 0x3f7e222b, v103 :: v_dual_mul_f32 v180, 0x3f7e222b, v113
	v_mul_f32_e32 v156, 0x3df6dbef, v100
	s_delay_alu instid0(VALU_DEP_3) | instskip(SKIP_2) | instid1(VALU_DEP_3)
	v_dual_fmamk_f32 v148, v116, 0xbf3f9e67, v150 :: v_dual_mul_f32 v191, 0xbf3f9e67, v122
	v_fma_f32 v150, 0xbf3f9e67, v116, -v150
	v_mul_f32_e32 v155, 0xbf52af12, v102
	v_dual_fmamk_f32 v149, v118, 0x3df6dbef, v151 :: v_dual_add_f32 v148, v37, v148
	v_dual_mul_f32 v152, 0xbf52af12, v105 :: v_dual_mul_f32 v183, 0xbf52af12, v114
	v_dual_mul_f32 v184, 0xbf6f5d39, v111 :: v_dual_mul_f32 v201, 0xbf6f5d39, v117
	v_dual_mul_f32 v185, 0xbf788fa5, v116 :: v_dual_add_f32 v150, v37, v150
	v_fma_f32 v200, 0x3df6dbef, v118, -v151
	v_mul_f32_e32 v154, 0x3f116cb1, v100
	v_dual_mul_f32 v157, 0xbf7e222b, v102 :: v_dual_add_f32 v148, v149, v148
	v_fmamk_f32 v149, v122, 0x3f116cb1, v152
	v_dual_fmamk_f32 v186, v126, 0xbeb58ec6, v184 :: v_dual_mul_f32 v193, 0xbeb58ec6, v123
	v_dual_mul_f32 v189, 0x3eedf032, v117 :: v_dual_add_f32 v150, v200, v150
	v_fma_f32 v152, 0x3f116cb1, v122, -v152
	v_mul_f32_e32 v176, 0xbf29c268, v112
	s_delay_alu instid0(VALU_DEP_4) | instskip(SKIP_1) | instid1(VALU_DEP_4)
	v_fmamk_f32 v197, v109, 0x3f6f5d39, v193
	v_dual_mul_f32 v159, 0xbf6f5d39, v103 :: v_dual_add_f32 v148, v149, v148
	v_dual_add_f32 v150, v152, v150 :: v_dual_mul_f32 v153, 0x3e750f2a, v107
	v_mul_f32_e32 v160, 0xbf788fa5, v101
	v_mul_f32_e32 v177, 0x3eedf032, v109
	v_fma_f32 v179, 0xbf3f9e67, v100, -v176
	v_mul_f32_e32 v158, 0xbeb58ec6, v101
	v_fmamk_f32 v149, v120, 0xbf788fa5, v153
	v_mul_f32_e32 v161, 0xbe750f2a, v103
	s_delay_alu instid0(VALU_DEP_4) | instskip(SKIP_1) | instid1(VALU_DEP_4)
	v_dual_mul_f32 v168, 0x3f62ad3f, v106 :: v_dual_add_f32 v179, v36, v179
	v_fma_f32 v182, 0x3df6dbef, v101, -v180
	v_dual_add_f32 v148, v149, v148 :: v_dual_fmamk_f32 v149, v123, 0x3f62ad3f, v177
	v_mul_f32_e32 v162, 0xbf788fa5, v104
	v_mul_f32_e32 v163, 0xbe750f2a, v105
	v_fmamk_f32 v187, v102, 0x3e750f2a, v185
	v_mul_f32_e32 v188, 0x3f62ad3f, v118
	v_dual_add_f32 v148, v149, v148 :: v_dual_add_f32 v149, v182, v179
	v_fma_f32 v179, 0x3f116cb1, v104, -v183
	v_mul_f32_e32 v182, 0x3e750f2a, v115
	v_mul_f32_e32 v164, 0xbeb58ec6, v104
	v_dual_mul_f32 v166, 0xbf3f9e67, v106 :: v_dual_add_f32 v187, v37, v187
	s_delay_alu instid0(VALU_DEP_4) | instskip(NEXT) | instid1(VALU_DEP_4)
	v_add_f32_e32 v149, v179, v149
	v_fma_f32 v179, 0xbf788fa5, v106, -v182
	v_fmamk_f32 v190, v103, 0xbeedf032, v188
	v_mul_f32_e32 v165, 0x3f6f5d39, v105
	v_mul_f32_e32 v167, 0x3f29c268, v107
	s_delay_alu instid0(VALU_DEP_4)
	v_dual_mul_f32 v170, 0x3df6dbef, v108 :: v_dual_add_f32 v179, v179, v149
	v_dual_mul_f32 v174, 0x3f62ad3f, v110 :: v_dual_add_f32 v149, v186, v148
	v_add_f32_e32 v148, v190, v187
	v_fmamk_f32 v186, v105, 0x3f29c268, v191
	v_mul_f32_e32 v198, 0x3f52af12, v115
	v_mul_f32_e32 v187, 0x3f116cb1, v120
	;; [unrolled: 1-line block ×3, first 2 shown]
	s_delay_alu instid0(VALU_DEP_4) | instskip(SKIP_1) | instid1(VALU_DEP_4)
	v_dual_mul_f32 v173, 0xbf52af12, v109 :: v_dual_add_f32 v148, v186, v148
	v_fma_f32 v192, 0x3f62ad3f, v108, -v189
	v_fmamk_f32 v186, v107, 0xbf52af12, v187
	v_mul_f32_e32 v171, 0x3f7e222b, v109
	v_fmac_f32_e32 v180, 0x3df6dbef, v101
	s_delay_alu instid0(VALU_DEP_4) | instskip(NEXT) | instid1(VALU_DEP_4)
	v_dual_mul_f32 v172, 0x3f116cb1, v108 :: v_dual_add_f32 v179, v192, v179
	v_dual_add_f32 v186, v186, v148 :: v_dual_mul_f32 v175, 0x3eedf032, v111
	v_mul_f32_e32 v196, 0x3eedf032, v113
	v_fmac_f32_e32 v189, 0x3f62ad3f, v108
	s_delay_alu instid0(VALU_DEP_3) | instskip(SKIP_4) | instid1(VALU_DEP_3)
	v_dual_fmac_f32 v183, 0x3f116cb1, v104 :: v_dual_add_f32 v186, v197, v186
	v_mul_f32_e32 v197, 0x3df6dbef, v126
	v_fma_f32 v152, 0xbf788fa5, v120, -v153
	v_fmac_f32_e32 v182, 0xbf788fa5, v106
	v_dual_mul_f32 v200, 0x3eedf032, v114 :: v_dual_add_f32 v119, v154, v119
	v_dual_fmamk_f32 v199, v111, 0xbf7e222b, v197 :: v_dual_add_f32 v152, v152, v150
	v_dual_mul_f32 v190, 0xbf6f5d39, v121 :: v_dual_add_f32 v127, v162, v127
	v_add_f32_e32 v39, v39, v37
	s_delay_alu instid0(VALU_DEP_3) | instskip(SKIP_1) | instid1(VALU_DEP_4)
	v_dual_add_f32 v151, v199, v186 :: v_dual_fmamk_f32 v186, v108, 0xbeb58ec6, v201
	v_mul_f32_e32 v192, 0xbe750f2a, v112
	v_fma_f32 v194, 0xbeb58ec6, v110, -v190
	v_fmac_f32_e32 v190, 0xbeb58ec6, v110
	v_fmac_f32_e32 v191, 0xbf29c268, v105
	;; [unrolled: 1-line block ×3, first 2 shown]
	s_delay_alu instid0(VALU_DEP_4) | instskip(SKIP_3) | instid1(VALU_DEP_4)
	v_dual_fmamk_f32 v195, v100, 0xbf788fa5, v192 :: v_dual_add_f32 v148, v194, v179
	v_fmamk_f32 v194, v101, 0x3f62ad3f, v196
	v_fma_f32 v177, 0x3f62ad3f, v123, -v177
	v_sub_f32_e32 v135, v135, v157
	v_dual_add_f32 v179, v36, v195 :: v_dual_fmac_f32 v176, 0xbf3f9e67, v100
	v_mul_f32_e32 v195, 0xbf29c268, v114
	v_mul_f32_e32 v178, 0xbf3f9e67, v110
	s_delay_alu instid0(VALU_DEP_3) | instskip(NEXT) | instid1(VALU_DEP_4)
	v_dual_add_f32 v152, v177, v152 :: v_dual_add_f32 v179, v194, v179
	v_add_f32_e32 v176, v36, v176
	s_delay_alu instid0(VALU_DEP_4)
	v_fmamk_f32 v194, v104, 0xbf3f9e67, v195
	v_mul_f32_e32 v199, 0x3f29c268, v113
	v_add_f32_e32 v203, v37, v135
	v_sub_f32_e32 v143, v143, v165
	v_add_f32_e32 v131, v156, v131
	v_add_f32_e32 v179, v194, v179
	v_fmamk_f32 v194, v106, 0x3f116cb1, v198
	v_add_f32_e32 v136, v164, v136
	v_sub_f32_e32 v128, v128, v159
	v_sub_f32_e32 v130, v130, v163
	;; [unrolled: 1-line block ×3, first 2 shown]
	v_add_f32_e32 v179, v194, v179
	v_add_f32_e32 v124, v158, v124
	;; [unrolled: 1-line block ×3, first 2 shown]
	v_fmac_f32_e32 v188, 0x3eedf032, v103
	s_delay_alu instid0(VALU_DEP_4) | instskip(SKIP_4) | instid1(VALU_DEP_4)
	v_dual_add_f32 v153, v186, v179 :: v_dual_mul_f32 v186, 0xbeb58ec6, v116
	v_add_f32_e32 v176, v180, v176
	v_mul_f32_e32 v180, 0x3f62ad3f, v122
	v_dual_mul_f32 v116, 0x3f62ad3f, v116 :: v_dual_add_f32 v119, v36, v119
	v_mul_f32_e32 v122, 0x3df6dbef, v122
	v_add_f32_e32 v176, v183, v176
	v_fma_f32 v183, 0xbeb58ec6, v126, -v184
	v_mul_f32_e32 v194, 0x3f7e222b, v121
	v_mul_f32_e32 v184, 0x3df6dbef, v120
	v_dual_mul_f32 v120, 0xbeb58ec6, v120 :: v_dual_add_f32 v39, v49, v39
	s_delay_alu instid0(VALU_DEP_3) | instskip(NEXT) | instid1(VALU_DEP_2)
	v_dual_add_f32 v38, v48, v38 :: v_dual_fmamk_f32 v179, v110, 0x3df6dbef, v194
	v_dual_mul_f32 v48, 0xbeedf032, v112 :: v_dual_add_f32 v39, v51, v39
	s_delay_alu instid0(VALU_DEP_2) | instskip(NEXT) | instid1(VALU_DEP_3)
	v_add_f32_e32 v38, v50, v38
	v_dual_add_f32 v150, v179, v153 :: v_dual_fmamk_f32 v153, v102, 0x3f6f5d39, v186
	v_mul_f32_e32 v179, 0xbf3f9e67, v118
	s_delay_alu instid0(VALU_DEP_4) | instskip(NEXT) | instid1(VALU_DEP_3)
	v_dual_add_f32 v39, v45, v39 :: v_dual_mul_f32 v50, 0xbf52af12, v113
	v_dual_add_f32 v38, v44, v38 :: v_dual_add_f32 v153, v37, v153
	s_delay_alu instid0(VALU_DEP_1) | instskip(NEXT) | instid1(VALU_DEP_1)
	v_dual_fmamk_f32 v177, v103, 0xbf29c268, v179 :: v_dual_add_f32 v38, v46, v38
	v_dual_mul_f32 v46, 0xbf788fa5, v126 :: v_dual_add_f32 v177, v177, v153
	v_add_f32_e32 v153, v183, v152
	v_dual_mul_f32 v183, 0xbf788fa5, v123 :: v_dual_add_f32 v176, v182, v176
	v_fmamk_f32 v182, v105, 0xbeedf032, v180
	v_dual_mul_f32 v123, 0xbf3f9e67, v123 :: v_dual_add_f32 v38, v52, v38
	v_fmamk_f32 v45, v100, 0x3f62ad3f, v48
	s_delay_alu instid0(VALU_DEP_3) | instskip(SKIP_1) | instid1(VALU_DEP_4)
	v_dual_fmamk_f32 v52, v111, 0x3e750f2a, v46 :: v_dual_add_f32 v177, v182, v177
	v_fmamk_f32 v182, v107, 0x3f7e222b, v184
	v_dual_add_f32 v38, v54, v38 :: v_dual_fmamk_f32 v51, v109, 0x3f29c268, v123
	s_delay_alu instid0(VALU_DEP_4) | instskip(NEXT) | instid1(VALU_DEP_2)
	v_dual_add_f32 v44, v36, v45 :: v_dual_fmamk_f32 v45, v101, 0x3f116cb1, v50
	v_dual_add_f32 v177, v182, v177 :: v_dual_add_f32 v38, v40, v38
	v_fmamk_f32 v182, v109, 0xbe750f2a, v183
	v_dual_add_f32 v152, v189, v176 :: v_dual_add_f32 v39, v47, v39
	s_delay_alu instid0(VALU_DEP_4) | instskip(NEXT) | instid1(VALU_DEP_3)
	v_dual_add_f32 v44, v45, v44 :: v_dual_mul_f32 v47, 0xbf7e222b, v114
	v_add_f32_e32 v177, v182, v177
	s_delay_alu instid0(VALU_DEP_3) | instskip(SKIP_4) | instid1(VALU_DEP_3)
	v_add_f32_e32 v152, v190, v152
	v_fmamk_f32 v190, v101, 0xbf3f9e67, v199
	v_mul_f32_e32 v176, 0xbf6f5d39, v112
	v_dual_mul_f32 v182, 0x3f116cb1, v126 :: v_dual_add_f32 v39, v53, v39
	v_dual_fmamk_f32 v45, v104, 0x3df6dbef, v47 :: v_dual_add_f32 v38, v42, v38
	v_fmamk_f32 v189, v100, 0xbeb58ec6, v176
	s_delay_alu instid0(VALU_DEP_3) | instskip(NEXT) | instid1(VALU_DEP_3)
	v_fmamk_f32 v202, v111, 0xbf52af12, v182
	v_dual_mul_f32 v53, 0xbf29c268, v117 :: v_dual_add_f32 v44, v45, v44
	s_delay_alu instid0(VALU_DEP_4) | instskip(NEXT) | instid1(VALU_DEP_4)
	v_add_f32_e32 v32, v32, v38
	v_add_f32_e32 v189, v36, v189
	v_fma_f32 v42, 0xbeb58ec6, v108, -v201
	v_fmac_f32_e32 v187, 0x3f52af12, v107
	v_fmac_f32_e32 v183, 0x3e750f2a, v109
	;; [unrolled: 1-line block ×3, first 2 shown]
	v_add_f32_e32 v157, v190, v189
	v_fmamk_f32 v189, v104, 0x3f62ad3f, v200
	v_mul_f32_e32 v190, 0xbf7e222b, v115
	v_sub_f32_e32 v140, v140, v161
	v_add_f32_e32 v135, v202, v177
	s_delay_alu instid0(VALU_DEP_4) | instskip(NEXT) | instid1(VALU_DEP_3)
	v_dual_add_f32 v32, v34, v32 :: v_dual_add_f32 v157, v189, v157
	v_dual_mul_f32 v189, 0x3e750f2a, v117 :: v_dual_add_f32 v140, v140, v203
	v_mul_f32_e32 v165, 0x3f52af12, v121
	s_delay_alu instid0(VALU_DEP_3) | instskip(SKIP_1) | instid1(VALU_DEP_4)
	v_dual_fmac_f32 v185, 0xbe750f2a, v102 :: v_dual_add_f32 v32, v57, v32
	v_fmac_f32_e32 v186, 0xbf6f5d39, v102
	v_dual_add_f32 v140, v143, v140 :: v_dual_sub_f32 v143, v145, v169
	v_fmamk_f32 v161, v106, 0x3df6dbef, v190
	v_fmamk_f32 v156, v110, 0x3f116cb1, v165
	v_fmac_f32_e32 v184, 0xbf7e222b, v107
	v_fmac_f32_e32 v180, 0x3eedf032, v105
	s_delay_alu instid0(VALU_DEP_4) | instskip(SKIP_4) | instid1(VALU_DEP_4)
	v_dual_add_f32 v140, v143, v140 :: v_dual_add_f32 v157, v161, v157
	v_fmamk_f32 v161, v108, 0xbf788fa5, v189
	v_sub_f32_e32 v143, v146, v173
	v_add_f32_e32 v131, v36, v131
	v_fmac_f32_e32 v182, 0x3f52af12, v111
	v_dual_fmac_f32 v46, 0xbe750f2a, v111 :: v_dual_add_f32 v145, v161, v157
	s_delay_alu instid0(VALU_DEP_4) | instskip(SKIP_1) | instid1(VALU_DEP_3)
	v_dual_add_f32 v157, v160, v134 :: v_dual_add_f32 v140, v143, v140
	v_sub_f32_e32 v143, v147, v181
	v_add_f32_e32 v134, v156, v145
	v_add_f32_e32 v145, v37, v125
	s_delay_alu instid0(VALU_DEP_4) | instskip(NEXT) | instid1(VALU_DEP_2)
	v_add_f32_e32 v131, v157, v131
	v_dual_add_f32 v125, v143, v140 :: v_dual_add_f32 v128, v128, v145
	s_delay_alu instid0(VALU_DEP_2) | instskip(SKIP_1) | instid1(VALU_DEP_3)
	v_add_f32_e32 v131, v136, v131
	v_add_f32_e32 v136, v168, v139
	;; [unrolled: 1-line block ×3, first 2 shown]
	v_sub_f32_e32 v130, v132, v167
	s_delay_alu instid0(VALU_DEP_3) | instskip(SKIP_2) | instid1(VALU_DEP_1)
	v_add_f32_e32 v131, v136, v131
	v_add_f32_e32 v136, v172, v141
	v_dual_add_f32 v132, v178, v144 :: v_dual_add_f32 v119, v124, v119
	v_add_f32_e32 v119, v127, v119
	v_add_f32_e32 v127, v166, v129
	s_delay_alu instid0(VALU_DEP_4) | instskip(SKIP_2) | instid1(VALU_DEP_3)
	v_dual_add_f32 v131, v136, v131 :: v_dual_add_f32 v128, v130, v128
	v_sub_f32_e32 v130, v137, v171
	v_sub_f32_e32 v129, v142, v175
	v_dual_add_f32 v124, v132, v131 :: v_dual_mul_f32 v131, 0x3f116cb1, v118
	s_delay_alu instid0(VALU_DEP_3) | instskip(SKIP_2) | instid1(VALU_DEP_3)
	v_add_f32_e32 v128, v130, v128
	v_fmamk_f32 v130, v102, 0x3eedf032, v116
	v_dual_add_f32 v118, v127, v119 :: v_dual_add_f32 v127, v170, v133
	v_dual_fmac_f32 v116, 0xbeedf032, v102 :: v_dual_add_f32 v119, v129, v128
	s_delay_alu instid0(VALU_DEP_3) | instskip(NEXT) | instid1(VALU_DEP_3)
	v_dual_add_f32 v128, v37, v130 :: v_dual_fmamk_f32 v129, v103, 0x3f52af12, v131
	v_add_f32_e32 v118, v127, v118
	s_delay_alu instid0(VALU_DEP_2) | instskip(NEXT) | instid1(VALU_DEP_1)
	v_dual_add_f32 v127, v174, v138 :: v_dual_add_f32 v128, v129, v128
	v_dual_fmamk_f32 v129, v105, 0x3f7e222b, v122 :: v_dual_add_f32 v118, v127, v118
	v_fmamk_f32 v127, v107, 0x3f6f5d39, v120
	v_fmac_f32_e32 v120, 0xbf6f5d39, v107
	s_delay_alu instid0(VALU_DEP_3) | instskip(NEXT) | instid1(VALU_DEP_1)
	v_dual_fmac_f32 v122, 0xbf7e222b, v105 :: v_dual_add_f32 v49, v129, v128
	v_add_f32_e32 v49, v127, v49
	s_delay_alu instid0(VALU_DEP_1) | instskip(SKIP_1) | instid1(VALU_DEP_1)
	v_add_f32_e32 v49, v51, v49
	v_mul_f32_e32 v51, 0xbf6f5d39, v115
	v_fmamk_f32 v45, v106, 0xbeb58ec6, v51
	s_delay_alu instid0(VALU_DEP_1) | instskip(NEXT) | instid1(VALU_DEP_1)
	v_dual_add_f32 v39, v55, v39 :: v_dual_add_f32 v40, v45, v44
	v_dual_add_f32 v41, v41, v39 :: v_dual_mul_f32 v44, 0xbe750f2a, v121
	v_add_f32_e32 v39, v52, v49
	v_fma_f32 v45, 0xbf3f9e67, v101, -v199
	v_fmac_f32_e32 v193, 0xbf6f5d39, v109
	s_delay_alu instid0(VALU_DEP_4) | instskip(NEXT) | instid1(VALU_DEP_1)
	v_add_f32_e32 v41, v43, v41
	v_add_f32_e32 v33, v33, v41
	s_delay_alu instid0(VALU_DEP_1) | instskip(SKIP_1) | instid1(VALU_DEP_1)
	v_add_f32_e32 v33, v35, v33
	v_add_f32_e32 v35, v37, v185
	v_dual_add_f32 v34, v188, v35 :: v_dual_fmamk_f32 v41, v110, 0xbf788fa5, v44
	v_fma_f32 v44, 0xbf788fa5, v110, -v44
	s_delay_alu instid0(VALU_DEP_2) | instskip(NEXT) | instid1(VALU_DEP_1)
	v_dual_add_f32 v34, v191, v34 :: v_dual_fmamk_f32 v43, v108, 0xbf3f9e67, v53
	v_add_f32_e32 v40, v43, v40
	s_delay_alu instid0(VALU_DEP_1) | instskip(SKIP_3) | instid1(VALU_DEP_3)
	v_add_f32_e32 v38, v41, v40
	v_fma_f32 v40, 0xbf788fa5, v100, -v192
	v_add_f32_e32 v41, v37, v186
	v_add_f32_e32 v37, v37, v116
	v_add_f32_e32 v35, v36, v40
	v_fma_f32 v40, 0x3f62ad3f, v101, -v196
	s_delay_alu instid0(VALU_DEP_4) | instskip(NEXT) | instid1(VALU_DEP_2)
	v_add_f32_e32 v41, v179, v41
	v_add_f32_e32 v35, v40, v35
	v_fma_f32 v40, 0xbf3f9e67, v104, -v195
	s_delay_alu instid0(VALU_DEP_1) | instskip(SKIP_1) | instid1(VALU_DEP_1)
	v_add_f32_e32 v35, v40, v35
	v_fma_f32 v40, 0x3f116cb1, v106, -v198
	v_add_f32_e32 v40, v40, v35
	s_delay_alu instid0(VALU_DEP_1) | instskip(SKIP_2) | instid1(VALU_DEP_2)
	v_add_f32_e32 v40, v42, v40
	v_dual_add_f32 v34, v187, v34 :: v_dual_add_f32 v33, v58, v33
	v_fma_f32 v42, 0x3df6dbef, v110, -v194
	v_add_f32_e32 v34, v193, v34
	s_delay_alu instid0(VALU_DEP_1) | instskip(SKIP_1) | instid1(VALU_DEP_1)
	v_add_f32_e32 v35, v197, v34
	v_fma_f32 v34, 0xbeb58ec6, v100, -v176
	v_dual_add_f32 v43, v36, v34 :: v_dual_add_f32 v34, v42, v40
	s_delay_alu instid0(VALU_DEP_1) | instskip(SKIP_2) | instid1(VALU_DEP_2)
	v_add_f32_e32 v42, v45, v43
	v_fma_f32 v43, 0x3f62ad3f, v104, -v200
	v_add_f32_e32 v41, v180, v41
	v_dual_add_f32 v42, v43, v42 :: v_dual_and_b32 v45, 0xffff, v88
	v_fma_f32 v43, 0x3df6dbef, v106, -v190
	s_delay_alu instid0(VALU_DEP_3) | instskip(NEXT) | instid1(VALU_DEP_2)
	v_add_f32_e32 v41, v184, v41
	v_dual_add_f32 v42, v43, v42 :: v_dual_lshlrev_b32 v45, 3, v45
	s_delay_alu instid0(VALU_DEP_2) | instskip(SKIP_2) | instid1(VALU_DEP_2)
	v_add_f32_e32 v40, v183, v41
	v_fma_f32 v41, 0x3f62ad3f, v100, -v48
	v_fma_f32 v43, 0xbf788fa5, v108, -v189
	v_dual_fmac_f32 v131, 0xbf52af12, v103 :: v_dual_add_f32 v36, v36, v41
	s_delay_alu instid0(VALU_DEP_2) | instskip(SKIP_2) | instid1(VALU_DEP_2)
	v_add_f32_e32 v42, v43, v42
	v_fma_f32 v41, 0x3f116cb1, v101, -v50
	v_fma_f32 v43, 0x3f116cb1, v110, -v165
	v_dual_fmac_f32 v123, 0xbf29c268, v109 :: v_dual_add_f32 v36, v41, v36
	v_fma_f32 v41, 0x3df6dbef, v104, -v47
	s_delay_alu instid0(VALU_DEP_1) | instskip(SKIP_1) | instid1(VALU_DEP_1)
	v_add_f32_e32 v36, v41, v36
	v_fma_f32 v41, 0xbeb58ec6, v106, -v51
	v_dual_add_f32 v37, v131, v37 :: v_dual_add_f32 v36, v41, v36
	s_delay_alu instid0(VALU_DEP_1) | instskip(SKIP_1) | instid1(VALU_DEP_1)
	v_add_f32_e32 v37, v122, v37
	v_fma_f32 v41, 0xbf3f9e67, v108, -v53
	v_dual_add_f32 v37, v120, v37 :: v_dual_add_f32 v48, v41, v36
	v_add_f32_e32 v36, v43, v42
	s_delay_alu instid0(VALU_DEP_2) | instskip(SKIP_1) | instid1(VALU_DEP_2)
	v_add_f32_e32 v47, v123, v37
	v_add_f32_e32 v37, v182, v40
	v_dual_add_f32 v40, v44, v48 :: v_dual_add_f32 v41, v46, v47
	ds_store_2addr_b64 v45, v[32:33], v[38:39] offset1:1
	ds_store_2addr_b64 v45, v[118:119], v[124:125] offset0:2 offset1:3
	ds_store_2addr_b64 v45, v[134:135], v[152:153] offset0:4 offset1:5
	;; [unrolled: 1-line block ×5, first 2 shown]
	ds_store_b64 v45, v[40:41] offset:96
.LBB0_17:
	s_wait_alu 0xfffe
	s_or_b32 exec_lo, exec_lo, s1
	v_add_nc_u32_e32 v54, 0x1200, v87
	v_add_nc_u32_e32 v55, 0x1c00, v87
	;; [unrolled: 1-line block ×3, first 2 shown]
	global_wb scope:SCOPE_SE
	s_wait_dscnt 0x0
	s_barrier_signal -1
	s_barrier_wait -1
	global_inv scope:SCOPE_SE
	ds_load_2addr_b64 v[32:35], v54 offset0:48 offset1:204
	ds_load_2addr_b64 v[36:39], v55 offset0:40 offset1:196
	;; [unrolled: 1-line block ×3, first 2 shown]
	s_wait_dscnt 0x2
	v_mul_f32_e32 v53, v60, v34
	s_wait_dscnt 0x0
	v_dual_mul_f32 v100, v64, v41 :: v_dual_mul_f32 v101, v62, v43
	v_add_nc_u32_e32 v58, 0x800, v87
	v_mul_f32_e32 v62, v62, v42
	s_delay_alu instid0(VALU_DEP_3)
	v_dual_fmac_f32 v100, v63, v40 :: v_dual_fmac_f32 v101, v61, v42
	ds_load_2addr_b64 v[44:47], v87 offset1:156
	ds_load_2addr_b64 v[48:51], v58 offset0:56 offset1:212
	v_mul_f32_e32 v52, v60, v35
	v_mul_f32_e32 v60, v66, v37
	v_mul_f32_e32 v66, v66, v36
	v_mul_f32_e32 v64, v64, v40
	v_fma_f32 v35, v59, v35, -v53
	global_wb scope:SCOPE_SE
	s_wait_dscnt 0x0
	v_fmac_f32_e32 v60, v65, v36
	v_fma_f32 v37, v65, v37, -v66
	v_fma_f32 v53, v63, v41, -v64
	v_mul_f32_e32 v88, v68, v39
	v_mul_f32_e32 v68, v68, v38
	s_barrier_signal -1
	s_barrier_wait -1
	global_inv scope:SCOPE_SE
	v_sub_f32_e32 v35, v45, v35
	v_sub_f32_e32 v37, v47, v37
	v_fmac_f32_e32 v52, v59, v34
	v_fma_f32 v39, v67, v39, -v68
	v_fma_f32 v59, v61, v43, -v62
	v_sub_f32_e32 v36, v46, v60
	v_fma_f32 v43, v47, 2.0, -v37
	v_sub_f32_e32 v47, v51, v53
	v_fmac_f32_e32 v88, v67, v38
	v_dual_sub_f32 v34, v44, v52 :: v_dual_sub_f32 v39, v49, v39
	v_fma_f32 v42, v46, 2.0, -v36
	v_sub_f32_e32 v46, v50, v100
	s_delay_alu instid0(VALU_DEP_4) | instskip(SKIP_3) | instid1(VALU_DEP_4)
	v_sub_f32_e32 v38, v48, v88
	v_dual_sub_f32 v52, v32, v101 :: v_dual_sub_f32 v53, v33, v59
	v_fma_f32 v40, v44, 2.0, -v34
	v_fma_f32 v41, v45, 2.0, -v35
	;; [unrolled: 1-line block ×8, first 2 shown]
	ds_store_2addr_b64 v90, v[40:41], v[34:35] offset1:13
	ds_store_2addr_b64 v94, v[42:43], v[36:37] offset1:13
	;; [unrolled: 1-line block ×5, first 2 shown]
	global_wb scope:SCOPE_SE
	s_wait_dscnt 0x0
	s_barrier_signal -1
	s_barrier_wait -1
	global_inv scope:SCOPE_SE
	ds_load_2addr_b64 v[32:35], v54 offset0:48 offset1:204
	ds_load_2addr_b64 v[36:39], v55 offset0:40 offset1:196
	;; [unrolled: 1-line block ×3, first 2 shown]
	ds_load_2addr_b64 v[44:47], v87 offset1:156
	ds_load_2addr_b64 v[48:51], v58 offset0:56 offset1:212
	global_wb scope:SCOPE_SE
	s_wait_dscnt 0x0
	s_barrier_signal -1
	s_barrier_wait -1
	global_inv scope:SCOPE_SE
	v_mul_f32_e32 v53, v76, v34
	v_dual_mul_f32 v52, v76, v35 :: v_dual_mul_f32 v59, v78, v37
	v_mul_f32_e32 v61, v74, v39
	v_mul_f32_e32 v60, v78, v36
	s_delay_alu instid0(VALU_DEP_4) | instskip(SKIP_4) | instid1(VALU_DEP_4)
	v_fma_f32 v35, v75, v35, -v53
	v_mul_f32_e32 v53, v72, v41
	v_fmac_f32_e32 v59, v77, v36
	v_dual_fmac_f32 v61, v73, v38 :: v_dual_mul_f32 v36, v72, v40
	v_fma_f32 v37, v77, v37, -v60
	v_fmac_f32_e32 v53, v71, v40
	v_fmac_f32_e32 v52, v75, v34
	v_mul_f32_e32 v34, v74, v38
	v_mul_f32_e32 v38, v70, v42
	;; [unrolled: 1-line block ×3, first 2 shown]
	v_fma_f32 v63, v71, v41, -v36
	v_sub_f32_e32 v36, v46, v59
	v_fma_f32 v62, v73, v39, -v34
	v_fma_f32 v64, v69, v43, -v38
	v_dual_sub_f32 v37, v47, v37 :: v_dual_fmac_f32 v60, v69, v42
	v_sub_f32_e32 v35, v45, v35
	v_fma_f32 v42, v46, 2.0, -v36
	s_delay_alu instid0(VALU_DEP_4) | instskip(SKIP_4) | instid1(VALU_DEP_4)
	v_dual_sub_f32 v46, v50, v53 :: v_dual_sub_f32 v53, v33, v64
	v_sub_f32_e32 v34, v44, v52
	v_dual_sub_f32 v40, v48, v61 :: v_dual_sub_f32 v41, v49, v62
	v_fma_f32 v43, v47, 2.0, -v37
	v_dual_sub_f32 v47, v51, v63 :: v_dual_sub_f32 v52, v32, v60
	v_fma_f32 v38, v44, 2.0, -v34
	v_fma_f32 v39, v45, 2.0, -v35
	;; [unrolled: 1-line block ×8, first 2 shown]
	ds_store_2addr_b64 v96, v[38:39], v[34:35] offset1:26
	ds_store_2addr_b64 v99, v[42:43], v[36:37] offset1:26
	;; [unrolled: 1-line block ×5, first 2 shown]
	global_wb scope:SCOPE_SE
	s_wait_dscnt 0x0
	s_barrier_signal -1
	s_barrier_wait -1
	global_inv scope:SCOPE_SE
	ds_load_2addr_b64 v[32:35], v87 offset1:156
	ds_load_2addr_b64 v[36:39], v58 offset0:56 offset1:212
	ds_load_2addr_b64 v[40:43], v54 offset0:48 offset1:204
	;; [unrolled: 1-line block ×4, first 2 shown]
	global_wb scope:SCOPE_SE
	s_wait_dscnt 0x0
	s_barrier_signal -1
	s_barrier_wait -1
	global_inv scope:SCOPE_SE
	v_mul_f32_e32 v52, v13, v35
	v_mul_f32_e32 v13, v13, v34
	;; [unrolled: 1-line block ×4, first 2 shown]
	s_delay_alu instid0(VALU_DEP_2) | instskip(NEXT) | instid1(VALU_DEP_2)
	v_fmac_f32_e32 v53, v14, v36
	v_fma_f32 v14, v14, v37, -v15
	v_dual_mul_f32 v15, v11, v41 :: v_dual_fmac_f32 v52, v12, v34
	v_fma_f32 v12, v12, v35, -v13
	v_mul_f32_e32 v13, v9, v39
	v_mul_f32_e32 v9, v9, v38
	s_delay_alu instid0(VALU_DEP_4) | instskip(SKIP_1) | instid1(VALU_DEP_4)
	v_fmac_f32_e32 v15, v10, v40
	v_dual_mul_f32 v11, v11, v40 :: v_dual_mul_f32 v34, v1, v47
	v_fmac_f32_e32 v13, v8, v38
	s_delay_alu instid0(VALU_DEP_4) | instskip(SKIP_1) | instid1(VALU_DEP_4)
	v_fma_f32 v8, v8, v39, -v9
	v_mul_f32_e32 v9, v5, v43
	v_fma_f32 v10, v10, v41, -v11
	v_mul_f32_e32 v5, v5, v42
	v_mul_f32_e32 v11, v7, v45
	v_dual_mul_f32 v7, v7, v44 :: v_dual_fmac_f32 v34, v0, v46
	v_dual_fmac_f32 v9, v4, v42 :: v_dual_sub_f32 v38, v53, v15
	s_delay_alu instid0(VALU_DEP_4) | instskip(NEXT) | instid1(VALU_DEP_4)
	v_fma_f32 v4, v4, v43, -v5
	v_dual_fmac_f32 v11, v6, v44 :: v_dual_add_f32 v36, v32, v53
	s_delay_alu instid0(VALU_DEP_4) | instskip(SKIP_3) | instid1(VALU_DEP_4)
	v_fma_f32 v6, v6, v45, -v7
	v_mul_f32_e32 v5, v3, v48
	v_mul_f32_e32 v3, v3, v49
	v_add_f32_e32 v43, v33, v14
	v_add_f32_e32 v44, v10, v6
	s_delay_alu instid0(VALU_DEP_4) | instskip(NEXT) | instid1(VALU_DEP_4)
	v_fma_f32 v5, v2, v49, -v5
	v_fmac_f32_e32 v3, v2, v48
	v_dual_sub_f32 v2, v10, v6 :: v_dual_add_f32 v7, v15, v11
	s_delay_alu instid0(VALU_DEP_2) | instskip(SKIP_1) | instid1(VALU_DEP_3)
	v_dual_mul_f32 v41, v80, v50 :: v_dual_add_f32 v40, v53, v3
	v_sub_f32_e32 v39, v3, v11
	v_fma_f32 v37, -0.5, v7, v32
	v_sub_f32_e32 v7, v14, v5
	v_mul_f32_e32 v1, v1, v46
	v_fma_f32 v32, -0.5, v40, v32
	v_add_f32_e32 v38, v38, v39
	v_fma_f32 v39, v79, v51, -v41
	s_delay_alu instid0(VALU_DEP_4) | instskip(SKIP_3) | instid1(VALU_DEP_3)
	v_fma_f32 v0, v0, v47, -v1
	v_dual_add_f32 v1, v36, v15 :: v_dual_fmamk_f32 v36, v7, 0xbf737871, v37
	v_fmac_f32_e32 v37, 0x3f737871, v7
	v_fmamk_f32 v41, v2, 0x3f737871, v32
	v_dual_fmac_f32 v32, 0xbf737871, v2 :: v_dual_add_f32 v1, v1, v11
	s_delay_alu instid0(VALU_DEP_4) | instskip(NEXT) | instid1(VALU_DEP_4)
	v_dual_fmac_f32 v36, 0xbf167918, v2 :: v_dual_mul_f32 v35, v80, v51
	v_dual_sub_f32 v42, v11, v3 :: v_dual_fmac_f32 v37, 0x3f167918, v2
	v_add_f32_e32 v2, v43, v10
	s_delay_alu instid0(VALU_DEP_4) | instskip(NEXT) | instid1(VALU_DEP_4)
	v_add_f32_e32 v40, v1, v3
	v_fmac_f32_e32 v36, 0x3e9e377a, v38
	v_fmac_f32_e32 v35, v79, v50
	v_dual_sub_f32 v1, v15, v53 :: v_dual_fmac_f32 v32, 0x3f167918, v7
	v_dual_sub_f32 v3, v53, v3 :: v_dual_add_f32 v2, v2, v6
	v_sub_f32_e32 v11, v15, v11
	s_delay_alu instid0(VALU_DEP_3)
	v_add_f32_e32 v1, v1, v42
	v_fma_f32 v42, -0.5, v44, v33
	v_fmac_f32_e32 v41, 0xbf167918, v7
	v_add_f32_e32 v7, v14, v5
	v_sub_f32_e32 v15, v14, v10
	v_dual_sub_f32 v43, v5, v6 :: v_dual_add_f32 v44, v2, v5
	v_sub_f32_e32 v2, v10, v14
	v_sub_f32_e32 v5, v6, v5
	v_fmac_f32_e32 v37, 0x3e9e377a, v38
	v_fmamk_f32 v38, v3, 0x3f737871, v42
	v_add_f32_e32 v6, v52, v13
	v_sub_f32_e32 v14, v9, v13
	v_add_f32_e32 v2, v2, v5
	s_delay_alu instid0(VALU_DEP_4) | instskip(SKIP_3) | instid1(VALU_DEP_2)
	v_fmac_f32_e32 v38, 0x3f167918, v11
	v_fmac_f32_e32 v41, 0x3e9e377a, v1
	v_dual_fmac_f32 v32, 0x3e9e377a, v1 :: v_dual_add_f32 v1, v15, v43
	v_dual_add_f32 v5, v6, v9 :: v_dual_add_f32 v6, v9, v34
	v_fmac_f32_e32 v38, 0x3e9e377a, v1
	v_fmac_f32_e32 v42, 0xbf737871, v3
	v_fma_f32 v33, -0.5, v7, v33
	s_delay_alu instid0(VALU_DEP_2) | instskip(NEXT) | instid1(VALU_DEP_1)
	v_dual_sub_f32 v7, v35, v34 :: v_dual_fmac_f32 v42, 0xbf167918, v11
	v_dual_fmac_f32 v42, 0x3e9e377a, v1 :: v_dual_add_f32 v1, v5, v34
	s_delay_alu instid0(VALU_DEP_3) | instskip(SKIP_1) | instid1(VALU_DEP_3)
	v_fmamk_f32 v15, v11, 0xbf737871, v33
	v_fmac_f32_e32 v33, 0x3f737871, v11
	v_add_f32_e32 v10, v1, v35
	s_delay_alu instid0(VALU_DEP_3) | instskip(NEXT) | instid1(VALU_DEP_3)
	v_fmac_f32_e32 v15, 0x3f167918, v3
	v_fmac_f32_e32 v33, 0xbf167918, v3
	v_fma_f32 v3, -0.5, v6, v52
	s_delay_alu instid0(VALU_DEP_3) | instskip(NEXT) | instid1(VALU_DEP_3)
	v_dual_sub_f32 v6, v8, v39 :: v_dual_fmac_f32 v15, 0x3e9e377a, v2
	v_dual_fmac_f32 v33, 0x3e9e377a, v2 :: v_dual_sub_f32 v2, v13, v9
	v_sub_f32_e32 v9, v9, v34
	v_sub_f32_e32 v1, v4, v0
	v_add_f32_e32 v5, v13, v35
	v_sub_f32_e32 v43, v34, v35
	v_add_f32_e32 v2, v2, v7
	s_delay_alu instid0(VALU_DEP_3) | instskip(SKIP_1) | instid1(VALU_DEP_4)
	v_dual_fmac_f32 v52, -0.5, v5 :: v_dual_fmamk_f32 v5, v6, 0xbf737871, v3
	v_fmac_f32_e32 v3, 0x3f737871, v6
	v_dual_add_f32 v7, v14, v43 :: v_dual_sub_f32 v14, v39, v0
	s_delay_alu instid0(VALU_DEP_3) | instskip(SKIP_1) | instid1(VALU_DEP_2)
	v_fmamk_f32 v11, v1, 0x3f737871, v52
	v_fmac_f32_e32 v52, 0xbf737871, v1
	v_fmac_f32_e32 v11, 0xbf167918, v6
	s_delay_alu instid0(VALU_DEP_2)
	v_fmac_f32_e32 v52, 0x3f167918, v6
	v_dual_sub_f32 v6, v13, v35 :: v_dual_fmac_f32 v3, 0x3f167918, v1
	v_sub_f32_e32 v35, v0, v39
	v_fmac_f32_e32 v5, 0xbf167918, v1
	v_add_f32_e32 v1, v4, v0
	v_add_f32_e32 v13, v12, v8
	v_fmac_f32_e32 v3, 0x3e9e377a, v2
	s_delay_alu instid0(VALU_DEP_4) | instskip(NEXT) | instid1(VALU_DEP_4)
	v_dual_fmac_f32 v5, 0x3e9e377a, v2 :: v_dual_add_f32 v2, v8, v39
	v_fma_f32 v1, -0.5, v1, v12
	s_delay_alu instid0(VALU_DEP_2) | instskip(SKIP_3) | instid1(VALU_DEP_4)
	v_fmac_f32_e32 v12, -0.5, v2
	v_sub_f32_e32 v2, v8, v4
	v_sub_f32_e32 v8, v4, v8
	v_add_f32_e32 v4, v13, v4
	v_fmamk_f32 v34, v9, 0xbf737871, v12
	v_fmac_f32_e32 v12, 0x3f737871, v9
	v_add_f32_e32 v2, v2, v14
	v_add_f32_e32 v8, v8, v35
	v_add_f32_e32 v0, v4, v0
	v_fmac_f32_e32 v34, 0x3f167918, v6
	v_fmac_f32_e32 v12, 0xbf167918, v6
	;; [unrolled: 1-line block ×4, first 2 shown]
	v_fmamk_f32 v7, v6, 0x3f737871, v1
	v_fmac_f32_e32 v1, 0xbf737871, v6
	v_dual_fmac_f32 v34, 0x3e9e377a, v8 :: v_dual_add_f32 v39, v0, v39
	v_add_f32_e32 v0, v40, v10
	s_delay_alu instid0(VALU_DEP_3) | instskip(SKIP_1) | instid1(VALU_DEP_4)
	v_dual_sub_f32 v10, v40, v10 :: v_dual_fmac_f32 v1, 0xbf167918, v9
	v_fmac_f32_e32 v12, 0x3e9e377a, v8
	v_mul_f32_e32 v14, 0xbf737871, v34
	v_mul_f32_e32 v46, 0x3e9e377a, v34
	s_delay_alu instid0(VALU_DEP_4) | instskip(NEXT) | instid1(VALU_DEP_4)
	v_fmac_f32_e32 v1, 0x3e9e377a, v2
	v_mul_f32_e32 v47, 0xbe9e377a, v12
	s_delay_alu instid0(VALU_DEP_4) | instskip(NEXT) | instid1(VALU_DEP_4)
	v_fmac_f32_e32 v14, 0x3e9e377a, v11
	v_fmac_f32_e32 v46, 0x3f737871, v11
	v_sub_f32_e32 v11, v44, v39
	v_mul_f32_e32 v43, 0xbf167918, v1
	s_delay_alu instid0(VALU_DEP_4) | instskip(NEXT) | instid1(VALU_DEP_2)
	v_dual_fmac_f32 v47, 0x3f737871, v52 :: v_dual_add_f32 v4, v41, v14
	v_dual_sub_f32 v14, v41, v14 :: v_dual_fmac_f32 v43, 0xbf4f1bbd, v3
	v_mul_f32_e32 v35, 0xbf737871, v12
	s_delay_alu instid0(VALU_DEP_1) | instskip(NEXT) | instid1(VALU_DEP_1)
	v_fmac_f32_e32 v35, 0xbe9e377a, v52
	v_dual_fmac_f32 v7, 0x3f167918, v9 :: v_dual_add_f32 v6, v32, v35
	s_delay_alu instid0(VALU_DEP_1) | instskip(SKIP_2) | instid1(VALU_DEP_3)
	v_dual_fmac_f32 v7, 0x3e9e377a, v2 :: v_dual_sub_f32 v34, v32, v35
	v_dual_mul_f32 v48, 0xbf4f1bbd, v1 :: v_dual_add_f32 v1, v44, v39
	v_add_f32_e32 v8, v37, v43
	v_mul_f32_e32 v13, 0xbf167918, v7
	v_sub_f32_e32 v32, v37, v43
	s_delay_alu instid0(VALU_DEP_4) | instskip(SKIP_3) | instid1(VALU_DEP_1)
	v_fmac_f32_e32 v48, 0x3f167918, v3
	v_add_nc_u32_e32 v37, 0x800, v89
	v_sub_f32_e32 v35, v33, v47
	v_fmac_f32_e32 v13, 0x3f4f1bbd, v5
	v_dual_add_f32 v9, v42, v48 :: v_dual_sub_f32 v12, v36, v13
	v_dual_mul_f32 v45, 0x3f4f1bbd, v7 :: v_dual_add_f32 v2, v36, v13
	v_dual_add_f32 v7, v33, v47 :: v_dual_add_nc_u32 v36, 0x400, v89
	v_sub_f32_e32 v33, v42, v48
	s_delay_alu instid0(VALU_DEP_3) | instskip(SKIP_2) | instid1(VALU_DEP_3)
	v_fmac_f32_e32 v45, 0x3f167918, v5
	v_add_f32_e32 v5, v15, v46
	v_sub_f32_e32 v15, v15, v46
	v_add_f32_e32 v3, v38, v45
	v_dual_sub_f32 v13, v38, v45 :: v_dual_add_nc_u32 v38, 0x2000, v87
	ds_store_2addr_b64 v89, v[0:1], v[2:3] offset1:52
	ds_store_2addr_b64 v89, v[4:5], v[6:7] offset0:104 offset1:156
	ds_store_2addr_b64 v36, v[8:9], v[10:11] offset0:80 offset1:132
	;; [unrolled: 1-line block ×4, first 2 shown]
	v_add_nc_u32_e32 v36, 0x900, v87
	v_add_nc_u32_e32 v37, 0x1400, v87
	global_wb scope:SCOPE_SE
	s_wait_dscnt 0x0
	s_barrier_signal -1
	s_barrier_wait -1
	global_inv scope:SCOPE_SE
	ds_load_2addr_b64 v[4:7], v87 offset1:156
	ds_load_2addr_b64 v[0:3], v36 offset0:24 offset1:232
	ds_load_2addr_b64 v[12:15], v38 offset0:16 offset1:172
	;; [unrolled: 1-line block ×3, first 2 shown]
	ds_load_b64 v[34:35], v87 offset:10816
	s_and_saveexec_b32 s1, s0
	s_cbranch_execz .LBB0_19
; %bb.18:
	ds_load_b64 v[32:33], v87 offset:3744
	ds_load_b64 v[83:84], v87 offset:7904
	;; [unrolled: 1-line block ×3, first 2 shown]
.LBB0_19:
	s_wait_alu 0xfffe
	s_or_b32 exec_lo, exec_lo, s1
	s_wait_dscnt 0x2
	v_dual_mul_f32 v39, v29, v3 :: v_dual_mul_f32 v40, v31, v13
	v_mul_f32_e32 v29, v29, v2
	v_mul_f32_e32 v31, v31, v12
	s_wait_dscnt 0x1
	s_delay_alu instid0(VALU_DEP_3)
	v_dual_fmac_f32 v39, v28, v2 :: v_dual_mul_f32 v2, v21, v8
	v_fmac_f32_e32 v40, v30, v12
	v_fma_f32 v3, v28, v3, -v29
	v_mul_f32_e32 v28, v21, v9
	v_fma_f32 v12, v30, v13, -v31
	v_mul_f32_e32 v13, v23, v15
	s_delay_alu instid0(VALU_DEP_3) | instskip(SKIP_2) | instid1(VALU_DEP_4)
	v_dual_mul_f32 v21, v25, v11 :: v_dual_fmac_f32 v28, v20, v8
	v_mul_f32_e32 v8, v23, v14
	v_fma_f32 v20, v20, v9, -v2
	v_fmac_f32_e32 v13, v22, v14
	v_mul_f32_e32 v2, v25, v10
	v_fmac_f32_e32 v21, v24, v10
	v_fma_f32 v14, v22, v15, -v8
	s_wait_dscnt 0x0
	v_dual_mul_f32 v8, v27, v34 :: v_dual_add_f32 v9, v4, v39
	v_mul_f32_e32 v15, v27, v35
	v_fma_f32 v22, v24, v11, -v2
	v_add_f32_e32 v2, v39, v40
	s_delay_alu instid0(VALU_DEP_4) | instskip(NEXT) | instid1(VALU_DEP_4)
	v_fma_f32 v23, v26, v35, -v8
	v_dual_add_f32 v8, v3, v12 :: v_dual_fmac_f32 v15, v26, v34
	v_sub_f32_e32 v10, v3, v12
	s_delay_alu instid0(VALU_DEP_4)
	v_fma_f32 v2, -0.5, v2, v4
	v_sub_f32_e32 v11, v39, v40
	v_add_f32_e32 v4, v9, v40
	v_add_f32_e32 v9, v5, v3
	v_fma_f32 v3, -0.5, v8, v5
	v_fmamk_f32 v8, v10, 0xbf5db3d7, v2
	v_fmac_f32_e32 v2, 0x3f5db3d7, v10
	s_delay_alu instid0(VALU_DEP_4) | instskip(NEXT) | instid1(VALU_DEP_4)
	v_dual_add_f32 v10, v28, v13 :: v_dual_add_f32 v5, v9, v12
	v_dual_fmamk_f32 v9, v11, 0x3f5db3d7, v3 :: v_dual_add_f32 v12, v6, v28
	v_fmac_f32_e32 v3, 0xbf5db3d7, v11
	v_add_f32_e32 v11, v20, v14
	v_sub_f32_e32 v24, v20, v14
	v_add_f32_e32 v20, v7, v20
	v_fma_f32 v6, -0.5, v10, v6
	v_sub_f32_e32 v26, v21, v15
	v_fmac_f32_e32 v7, -0.5, v11
	v_sub_f32_e32 v25, v28, v13
	v_dual_add_f32 v11, v20, v14 :: v_dual_add_f32 v14, v21, v15
	v_add_f32_e32 v20, v22, v23
	v_add_f32_e32 v10, v12, v13
	v_fmamk_f32 v12, v24, 0xbf5db3d7, v6
	v_dual_fmac_f32 v6, 0x3f5db3d7, v24 :: v_dual_fmamk_f32 v13, v25, 0x3f5db3d7, v7
	v_fmac_f32_e32 v7, 0xbf5db3d7, v25
	v_dual_add_f32 v24, v0, v21 :: v_dual_sub_f32 v25, v22, v23
	v_fma_f32 v0, -0.5, v14, v0
	v_dual_add_f32 v22, v1, v22 :: v_dual_fmac_f32 v1, -0.5, v20
	s_delay_alu instid0(VALU_DEP_3) | instskip(NEXT) | instid1(VALU_DEP_2)
	v_add_f32_e32 v14, v24, v15
	v_dual_fmamk_f32 v20, v25, 0xbf5db3d7, v0 :: v_dual_add_f32 v15, v22, v23
	s_delay_alu instid0(VALU_DEP_3)
	v_dual_fmamk_f32 v21, v26, 0x3f5db3d7, v1 :: v_dual_fmac_f32 v0, 0x3f5db3d7, v25
	v_fmac_f32_e32 v1, 0xbf5db3d7, v26
	ds_store_2addr_b64 v87, v[4:5], v[10:11] offset1:156
	ds_store_2addr_b64 v38, v[2:3], v[6:7] offset0:16 offset1:172
	ds_store_2addr_b64 v36, v[14:15], v[8:9] offset0:24 offset1:232
	;; [unrolled: 1-line block ×3, first 2 shown]
	ds_store_b64 v87, v[0:1] offset:10816
	s_and_saveexec_b32 s1, s0
	s_cbranch_execz .LBB0_21
; %bb.20:
	v_dual_mul_f32 v0, v17, v83 :: v_dual_mul_f32 v1, v19, v81
	s_delay_alu instid0(VALU_DEP_1) | instskip(NEXT) | instid1(VALU_DEP_2)
	v_fma_f32 v0, v16, v84, -v0
	v_fma_f32 v3, v18, v82, -v1
	v_mul_f32_e32 v2, v17, v84
	s_delay_alu instid0(VALU_DEP_3) | instskip(NEXT) | instid1(VALU_DEP_1)
	v_dual_mul_f32 v4, v19, v82 :: v_dual_add_f32 v7, v33, v0
	v_dual_add_f32 v1, v0, v3 :: v_dual_fmac_f32 v4, v18, v81
	s_delay_alu instid0(VALU_DEP_1) | instskip(NEXT) | instid1(VALU_DEP_4)
	v_fma_f32 v1, -0.5, v1, v33
	v_fmac_f32_e32 v2, v16, v83
	v_sub_f32_e32 v8, v0, v3
	s_delay_alu instid0(VALU_DEP_2) | instskip(SKIP_1) | instid1(VALU_DEP_1)
	v_dual_add_f32 v3, v7, v3 :: v_dual_sub_f32 v6, v2, v4
	v_add_f32_e32 v5, v2, v4
	v_fma_f32 v0, -0.5, v5, v32
	s_delay_alu instid0(VALU_DEP_3) | instskip(NEXT) | instid1(VALU_DEP_1)
	v_dual_fmamk_f32 v5, v6, 0xbf5db3d7, v1 :: v_dual_add_f32 v2, v32, v2
	v_dual_fmac_f32 v1, 0x3f5db3d7, v6 :: v_dual_add_f32 v2, v2, v4
	s_delay_alu instid0(VALU_DEP_3)
	v_fmamk_f32 v4, v8, 0x3f5db3d7, v0
	v_fmac_f32_e32 v0, 0xbf5db3d7, v8
	ds_store_b64 v87, v[2:3] offset:3744
	ds_store_b64 v87, v[0:1] offset:7904
	;; [unrolled: 1-line block ×3, first 2 shown]
.LBB0_21:
	s_wait_alu 0xfffe
	s_or_b32 exec_lo, exec_lo, s1
	global_wb scope:SCOPE_SE
	s_wait_dscnt 0x0
	s_barrier_signal -1
	s_barrier_wait -1
	global_inv scope:SCOPE_SE
	s_and_b32 exec_lo, exec_lo, vcc_lo
	s_cbranch_execz .LBB0_23
; %bb.22:
	s_clause 0xb
	global_load_b64 v[24:25], v85, s[8:9]
	global_load_b64 v[26:27], v85, s[8:9] offset:960
	global_load_b64 v[28:29], v85, s[8:9] offset:1920
	;; [unrolled: 1-line block ×11, first 2 shown]
	v_mad_co_u64_u32 v[12:13], null, s6, v56, 0
	ds_load_b64 v[50:51], v87
	v_mad_co_u64_u32 v[48:49], null, s4, v86, 0
	s_mov_b32 s2, 0x15015015
	s_mov_b32 s3, 0x3f450150
	v_dual_mov_b32 v0, v13 :: v_dual_add_nc_u32 v5, 0x800, v85
	s_mul_u64 s[0:1], s[4:5], 0x3c0
	v_add_nc_u32_e32 v16, 0x2000, v85
	s_delay_alu instid0(VALU_DEP_3) | instskip(NEXT) | instid1(VALU_DEP_3)
	v_mov_b32_e32 v4, v49
	v_mad_co_u64_u32 v[8:9], null, s7, v56, v[0:1]
	v_add_nc_u32_e32 v9, 0x1000, v85
	ds_load_2addr_b64 v[0:3], v85 offset0:120 offset1:240
	v_mad_co_u64_u32 v[14:15], null, s5, v86, v[4:5]
	ds_load_2addr_b64 v[4:7], v5 offset0:104 offset1:224
	v_dual_mov_b32 v13, v8 :: v_dual_add_nc_u32 v20, 0x2800, v85
	ds_load_2addr_b64 v[8:11], v9 offset0:88 offset1:208
	v_mov_b32_e32 v49, v14
	v_lshlrev_b64_e32 v[52:53], 3, v[12:13]
	s_delay_alu instid0(VALU_DEP_2) | instskip(NEXT) | instid1(VALU_DEP_2)
	v_lshlrev_b64_e32 v[48:49], 3, v[48:49]
	v_add_co_u32 v52, vcc_lo, s12, v52
	s_delay_alu instid0(VALU_DEP_3) | instskip(NEXT) | instid1(VALU_DEP_2)
	v_add_co_ci_u32_e32 v53, vcc_lo, s13, v53, vcc_lo
	v_add_co_u32 v48, vcc_lo, v52, v48
	s_wait_alu 0xfffd
	s_delay_alu instid0(VALU_DEP_2) | instskip(SKIP_1) | instid1(VALU_DEP_2)
	v_add_co_ci_u32_e32 v49, vcc_lo, v53, v49, vcc_lo
	s_wait_alu 0xfffe
	v_add_co_u32 v52, vcc_lo, v48, s0
	s_wait_alu 0xfffd
	s_delay_alu instid0(VALU_DEP_2)
	v_add_co_ci_u32_e32 v53, vcc_lo, s1, v49, vcc_lo
	s_wait_loadcnt_dscnt 0xa02
	v_dual_mul_f32 v54, v51, v25 :: v_dual_mul_f32 v55, v1, v27
	v_add_nc_u32_e32 v15, 0x1800, v85
	v_mul_f32_e32 v25, v50, v25
	s_wait_loadcnt 0x9
	v_dual_mul_f32 v27, v0, v27 :: v_dual_mul_f32 v56, v3, v29
	v_fmac_f32_e32 v54, v50, v24
	ds_load_2addr_b64 v[12:15], v15 offset0:72 offset1:192
	ds_load_2addr_b64 v[16:19], v16 offset0:56 offset1:176
	;; [unrolled: 1-line block ×3, first 2 shown]
	v_mul_f32_e32 v29, v2, v29
	s_wait_loadcnt_dscnt 0x704
	v_dual_mul_f32 v57, v5, v31 :: v_dual_mul_f32 v58, v7, v33
	s_wait_loadcnt_dscnt 0x503
	v_dual_mul_f32 v31, v4, v31 :: v_dual_mul_f32 v60, v11, v37
	v_mul_f32_e32 v33, v6, v33
	v_mul_f32_e32 v59, v9, v35
	;; [unrolled: 1-line block ×3, first 2 shown]
	v_fma_f32 v24, v24, v51, -v25
	v_mul_f32_e32 v37, v10, v37
	v_fmac_f32_e32 v55, v0, v26
	v_fma_f32 v25, v26, v1, -v27
	v_fma_f32 v26, v28, v3, -v29
	v_fmac_f32_e32 v57, v4, v30
	v_fma_f32 v27, v30, v5, -v31
	v_cvt_f64_f32_e32 v[0:1], v54
	s_wait_loadcnt_dscnt 0x402
	v_dual_fmac_f32 v56, v2, v28 :: v_dual_mul_f32 v61, v13, v39
	v_dual_mul_f32 v39, v12, v39 :: v_dual_fmac_f32 v58, v6, v32
	s_wait_loadcnt 0x3
	v_mul_f32_e32 v62, v15, v41
	v_mul_f32_e32 v41, v14, v41
	s_wait_loadcnt_dscnt 0x201
	v_dual_mul_f32 v63, v17, v43 :: v_dual_fmac_f32 v60, v10, v36
	s_delay_alu instid0(VALU_DEP_3)
	v_dual_mul_f32 v43, v16, v43 :: v_dual_fmac_f32 v62, v14, v40
	s_wait_loadcnt 0x1
	v_mul_f32_e32 v64, v19, v45
	v_mul_f32_e32 v45, v18, v45
	v_fma_f32 v28, v32, v7, -v33
	s_wait_loadcnt_dscnt 0x0
	v_mul_f32_e32 v65, v21, v47
	v_mul_f32_e32 v47, v20, v47
	v_fmac_f32_e32 v59, v8, v34
	v_fma_f32 v29, v34, v9, -v35
	v_cvt_f64_f32_e32 v[2:3], v24
	v_fma_f32 v30, v36, v11, -v37
	v_cvt_f64_f32_e32 v[4:5], v55
	v_cvt_f64_f32_e32 v[6:7], v25
	v_fmac_f32_e32 v61, v12, v38
	v_fma_f32 v32, v38, v13, -v39
	v_cvt_f64_f32_e32 v[8:9], v56
	v_cvt_f64_f32_e32 v[10:11], v26
	v_fma_f32 v36, v40, v15, -v41
	v_cvt_f64_f32_e32 v[12:13], v57
	v_cvt_f64_f32_e32 v[14:15], v27
	v_fmac_f32_e32 v63, v16, v42
	v_fma_f32 v40, v42, v17, -v43
	v_fmac_f32_e32 v64, v18, v44
	v_fma_f32 v44, v44, v19, -v45
	v_cvt_f64_f32_e32 v[16:17], v58
	v_cvt_f64_f32_e32 v[18:19], v28
	v_fmac_f32_e32 v65, v20, v46
	v_fma_f32 v50, v46, v21, -v47
	v_cvt_f64_f32_e32 v[20:21], v59
	v_cvt_f64_f32_e32 v[24:25], v29
	;; [unrolled: 1-line block ×14, first 2 shown]
	v_mul_f64_e32 v[0:1], s[2:3], v[0:1]
	v_add_co_u32 v54, vcc_lo, v52, s0
	s_wait_alu 0xfffd
	v_add_co_ci_u32_e32 v55, vcc_lo, s1, v53, vcc_lo
	v_mul_f64_e32 v[2:3], s[2:3], v[2:3]
	s_delay_alu instid0(VALU_DEP_3)
	v_add_co_u32 v56, vcc_lo, v54, s0
	v_mul_f64_e32 v[4:5], s[2:3], v[4:5]
	v_mul_f64_e32 v[6:7], s[2:3], v[6:7]
	s_wait_alu 0xfffd
	v_add_co_ci_u32_e32 v57, vcc_lo, s1, v55, vcc_lo
	v_mul_f64_e32 v[8:9], s[2:3], v[8:9]
	v_mul_f64_e32 v[10:11], s[2:3], v[10:11]
	;; [unrolled: 1-line block ×4, first 2 shown]
	v_add_co_u32 v58, vcc_lo, v56, s0
	s_wait_alu 0xfffd
	v_add_co_ci_u32_e32 v59, vcc_lo, s1, v57, vcc_lo
	v_mul_f64_e32 v[16:17], s[2:3], v[16:17]
	v_mul_f64_e32 v[18:19], s[2:3], v[18:19]
	v_add_co_u32 v60, vcc_lo, v58, s0
	v_mul_f64_e32 v[20:21], s[2:3], v[20:21]
	v_mul_f64_e32 v[24:25], s[2:3], v[24:25]
	;; [unrolled: 1-line block ×14, first 2 shown]
	v_cvt_f32_f64_e32 v0, v[0:1]
	s_wait_alu 0xfffd
	v_add_co_ci_u32_e32 v61, vcc_lo, s1, v59, vcc_lo
	v_cvt_f32_f64_e32 v1, v[2:3]
	v_cvt_f32_f64_e32 v2, v[4:5]
	;; [unrolled: 1-line block ×23, first 2 shown]
	v_add_co_u32 v26, vcc_lo, v60, s0
	s_wait_alu 0xfffd
	v_add_co_ci_u32_e32 v27, vcc_lo, s1, v61, vcc_lo
	s_delay_alu instid0(VALU_DEP_2) | instskip(SKIP_1) | instid1(VALU_DEP_2)
	v_add_co_u32 v28, vcc_lo, v26, s0
	s_wait_alu 0xfffd
	v_add_co_ci_u32_e32 v29, vcc_lo, s1, v27, vcc_lo
	s_delay_alu instid0(VALU_DEP_2) | instskip(SKIP_1) | instid1(VALU_DEP_2)
	;; [unrolled: 4-line block ×5, first 2 shown]
	v_add_co_u32 v36, vcc_lo, v34, s0
	s_wait_alu 0xfffd
	v_add_co_ci_u32_e32 v37, vcc_lo, s1, v35, vcc_lo
	s_clause 0x4
	global_store_b64 v[48:49], v[0:1], off
	global_store_b64 v[52:53], v[2:3], off
	;; [unrolled: 1-line block ×12, first 2 shown]
	global_load_b64 v[0:1], v85, s[8:9] offset:11520
	s_wait_loadcnt 0x0
	v_mul_f32_e32 v2, v23, v1
	v_mul_f32_e32 v1, v22, v1
	s_delay_alu instid0(VALU_DEP_2) | instskip(NEXT) | instid1(VALU_DEP_2)
	v_fmac_f32_e32 v2, v22, v0
	v_fma_f32 v3, v0, v23, -v1
	s_delay_alu instid0(VALU_DEP_2) | instskip(NEXT) | instid1(VALU_DEP_2)
	v_cvt_f64_f32_e32 v[0:1], v2
	v_cvt_f64_f32_e32 v[2:3], v3
	s_delay_alu instid0(VALU_DEP_2) | instskip(NEXT) | instid1(VALU_DEP_2)
	v_mul_f64_e32 v[0:1], s[2:3], v[0:1]
	v_mul_f64_e32 v[2:3], s[2:3], v[2:3]
	s_delay_alu instid0(VALU_DEP_2) | instskip(NEXT) | instid1(VALU_DEP_2)
	v_cvt_f32_f64_e32 v0, v[0:1]
	v_cvt_f32_f64_e32 v1, v[2:3]
	v_add_co_u32 v2, vcc_lo, v36, s0
	s_wait_alu 0xfffd
	v_add_co_ci_u32_e32 v3, vcc_lo, s1, v37, vcc_lo
	global_store_b64 v[2:3], v[0:1], off
.LBB0_23:
	s_nop 0
	s_sendmsg sendmsg(MSG_DEALLOC_VGPRS)
	s_endpgm
	.section	.rodata,"a",@progbits
	.p2align	6, 0x0
	.amdhsa_kernel bluestein_single_fwd_len1560_dim1_sp_op_CI_CI
		.amdhsa_group_segment_fixed_size 12480
		.amdhsa_private_segment_fixed_size 0
		.amdhsa_kernarg_size 104
		.amdhsa_user_sgpr_count 2
		.amdhsa_user_sgpr_dispatch_ptr 0
		.amdhsa_user_sgpr_queue_ptr 0
		.amdhsa_user_sgpr_kernarg_segment_ptr 1
		.amdhsa_user_sgpr_dispatch_id 0
		.amdhsa_user_sgpr_private_segment_size 0
		.amdhsa_wavefront_size32 1
		.amdhsa_uses_dynamic_stack 0
		.amdhsa_enable_private_segment 0
		.amdhsa_system_sgpr_workgroup_id_x 1
		.amdhsa_system_sgpr_workgroup_id_y 0
		.amdhsa_system_sgpr_workgroup_id_z 0
		.amdhsa_system_sgpr_workgroup_info 0
		.amdhsa_system_vgpr_workitem_id 0
		.amdhsa_next_free_vgpr 204
		.amdhsa_next_free_sgpr 14
		.amdhsa_reserve_vcc 1
		.amdhsa_float_round_mode_32 0
		.amdhsa_float_round_mode_16_64 0
		.amdhsa_float_denorm_mode_32 3
		.amdhsa_float_denorm_mode_16_64 3
		.amdhsa_fp16_overflow 0
		.amdhsa_workgroup_processor_mode 1
		.amdhsa_memory_ordered 1
		.amdhsa_forward_progress 0
		.amdhsa_round_robin_scheduling 0
		.amdhsa_exception_fp_ieee_invalid_op 0
		.amdhsa_exception_fp_denorm_src 0
		.amdhsa_exception_fp_ieee_div_zero 0
		.amdhsa_exception_fp_ieee_overflow 0
		.amdhsa_exception_fp_ieee_underflow 0
		.amdhsa_exception_fp_ieee_inexact 0
		.amdhsa_exception_int_div_zero 0
	.end_amdhsa_kernel
	.text
.Lfunc_end0:
	.size	bluestein_single_fwd_len1560_dim1_sp_op_CI_CI, .Lfunc_end0-bluestein_single_fwd_len1560_dim1_sp_op_CI_CI
                                        ; -- End function
	.section	.AMDGPU.csdata,"",@progbits
; Kernel info:
; codeLenInByte = 16880
; NumSgprs: 16
; NumVgprs: 204
; ScratchSize: 0
; MemoryBound: 0
; FloatMode: 240
; IeeeMode: 1
; LDSByteSize: 12480 bytes/workgroup (compile time only)
; SGPRBlocks: 1
; VGPRBlocks: 25
; NumSGPRsForWavesPerEU: 16
; NumVGPRsForWavesPerEU: 204
; Occupancy: 7
; WaveLimiterHint : 1
; COMPUTE_PGM_RSRC2:SCRATCH_EN: 0
; COMPUTE_PGM_RSRC2:USER_SGPR: 2
; COMPUTE_PGM_RSRC2:TRAP_HANDLER: 0
; COMPUTE_PGM_RSRC2:TGID_X_EN: 1
; COMPUTE_PGM_RSRC2:TGID_Y_EN: 0
; COMPUTE_PGM_RSRC2:TGID_Z_EN: 0
; COMPUTE_PGM_RSRC2:TIDIG_COMP_CNT: 0
	.text
	.p2alignl 7, 3214868480
	.fill 96, 4, 3214868480
	.type	__hip_cuid_9726cb4766feec40,@object ; @__hip_cuid_9726cb4766feec40
	.section	.bss,"aw",@nobits
	.globl	__hip_cuid_9726cb4766feec40
__hip_cuid_9726cb4766feec40:
	.byte	0                               ; 0x0
	.size	__hip_cuid_9726cb4766feec40, 1

	.ident	"AMD clang version 19.0.0git (https://github.com/RadeonOpenCompute/llvm-project roc-6.4.0 25133 c7fe45cf4b819c5991fe208aaa96edf142730f1d)"
	.section	".note.GNU-stack","",@progbits
	.addrsig
	.addrsig_sym __hip_cuid_9726cb4766feec40
	.amdgpu_metadata
---
amdhsa.kernels:
  - .args:
      - .actual_access:  read_only
        .address_space:  global
        .offset:         0
        .size:           8
        .value_kind:     global_buffer
      - .actual_access:  read_only
        .address_space:  global
        .offset:         8
        .size:           8
        .value_kind:     global_buffer
      - .actual_access:  read_only
        .address_space:  global
        .offset:         16
        .size:           8
        .value_kind:     global_buffer
      - .actual_access:  read_only
        .address_space:  global
        .offset:         24
        .size:           8
        .value_kind:     global_buffer
      - .actual_access:  read_only
        .address_space:  global
        .offset:         32
        .size:           8
        .value_kind:     global_buffer
      - .offset:         40
        .size:           8
        .value_kind:     by_value
      - .address_space:  global
        .offset:         48
        .size:           8
        .value_kind:     global_buffer
      - .address_space:  global
        .offset:         56
        .size:           8
        .value_kind:     global_buffer
      - .address_space:  global
        .offset:         64
        .size:           8
        .value_kind:     global_buffer
      - .address_space:  global
        .offset:         72
        .size:           8
        .value_kind:     global_buffer
      - .offset:         80
        .size:           4
        .value_kind:     by_value
      - .address_space:  global
        .offset:         88
        .size:           8
        .value_kind:     global_buffer
      - .address_space:  global
        .offset:         96
        .size:           8
        .value_kind:     global_buffer
    .group_segment_fixed_size: 12480
    .kernarg_segment_align: 8
    .kernarg_segment_size: 104
    .language:       OpenCL C
    .language_version:
      - 2
      - 0
    .max_flat_workgroup_size: 156
    .name:           bluestein_single_fwd_len1560_dim1_sp_op_CI_CI
    .private_segment_fixed_size: 0
    .sgpr_count:     16
    .sgpr_spill_count: 0
    .symbol:         bluestein_single_fwd_len1560_dim1_sp_op_CI_CI.kd
    .uniform_work_group_size: 1
    .uses_dynamic_stack: false
    .vgpr_count:     204
    .vgpr_spill_count: 0
    .wavefront_size: 32
    .workgroup_processor_mode: 1
amdhsa.target:   amdgcn-amd-amdhsa--gfx1201
amdhsa.version:
  - 1
  - 2
...

	.end_amdgpu_metadata
